;; amdgpu-corpus repo=ROCm/aiter kind=compiled arch=gfx90a opt=O3
	.text
	.amdgcn_target "amdgcn-amd-amdhsa--gfx90a"
	.amdhsa_code_object_version 6
	.section	.text._ZN7ck_tileL11flush_cacheEv,"axG",@progbits,_ZN7ck_tileL11flush_cacheEv,comdat
	.globl	_ZN7ck_tileL11flush_cacheEv     ; -- Begin function _ZN7ck_tileL11flush_cacheEv
	.p2align	8
	.type	_ZN7ck_tileL11flush_cacheEv,@function
_ZN7ck_tileL11flush_cacheEv:            ; @_ZN7ck_tileL11flush_cacheEv
; %bb.0:
	;;#ASMSTART
	s_icache_inv 
	s_nop 0 
	s_nop 0 
	;; [unrolled: 1-line block ×16, first 2 shown]
	
	;;#ASMEND
	s_endpgm
	.section	.rodata,"a",@progbits
	.p2align	6, 0x0
	.amdhsa_kernel _ZN7ck_tileL11flush_cacheEv
		.amdhsa_group_segment_fixed_size 0
		.amdhsa_private_segment_fixed_size 0
		.amdhsa_kernarg_size 0
		.amdhsa_user_sgpr_count 4
		.amdhsa_user_sgpr_private_segment_buffer 1
		.amdhsa_user_sgpr_dispatch_ptr 0
		.amdhsa_user_sgpr_queue_ptr 0
		.amdhsa_user_sgpr_kernarg_segment_ptr 0
		.amdhsa_user_sgpr_dispatch_id 0
		.amdhsa_user_sgpr_flat_scratch_init 0
		.amdhsa_user_sgpr_kernarg_preload_length 0
		.amdhsa_user_sgpr_kernarg_preload_offset 0
		.amdhsa_user_sgpr_private_segment_size 0
		.amdhsa_uses_dynamic_stack 0
		.amdhsa_system_sgpr_private_segment_wavefront_offset 0
		.amdhsa_system_sgpr_workgroup_id_x 1
		.amdhsa_system_sgpr_workgroup_id_y 0
		.amdhsa_system_sgpr_workgroup_id_z 0
		.amdhsa_system_sgpr_workgroup_info 0
		.amdhsa_system_vgpr_workitem_id 0
		.amdhsa_next_free_vgpr 1
		.amdhsa_next_free_sgpr 0
		.amdhsa_accum_offset 4
		.amdhsa_reserve_vcc 0
		.amdhsa_reserve_flat_scratch 0
		.amdhsa_float_round_mode_32 0
		.amdhsa_float_round_mode_16_64 0
		.amdhsa_float_denorm_mode_32 3
		.amdhsa_float_denorm_mode_16_64 3
		.amdhsa_dx10_clamp 1
		.amdhsa_ieee_mode 1
		.amdhsa_fp16_overflow 0
		.amdhsa_tg_split 0
		.amdhsa_exception_fp_ieee_invalid_op 0
		.amdhsa_exception_fp_denorm_src 0
		.amdhsa_exception_fp_ieee_div_zero 0
		.amdhsa_exception_fp_ieee_overflow 0
		.amdhsa_exception_fp_ieee_underflow 0
		.amdhsa_exception_fp_ieee_inexact 0
		.amdhsa_exception_int_div_zero 0
	.end_amdhsa_kernel
	.section	.text._ZN7ck_tileL11flush_cacheEv,"axG",@progbits,_ZN7ck_tileL11flush_cacheEv,comdat
.Lfunc_end0:
	.size	_ZN7ck_tileL11flush_cacheEv, .Lfunc_end0-_ZN7ck_tileL11flush_cacheEv
                                        ; -- End function
	.section	.AMDGPU.csdata,"",@progbits
; Kernel info:
; codeLenInByte = 140
; NumSgprs: 4
; NumVgprs: 0
; NumAgprs: 0
; TotalNumVgprs: 0
; ScratchSize: 0
; MemoryBound: 0
; FloatMode: 240
; IeeeMode: 1
; LDSByteSize: 0 bytes/workgroup (compile time only)
; SGPRBlocks: 0
; VGPRBlocks: 0
; NumSGPRsForWavesPerEU: 4
; NumVGPRsForWavesPerEU: 1
; AccumOffset: 4
; Occupancy: 8
; WaveLimiterHint : 0
; COMPUTE_PGM_RSRC2:SCRATCH_EN: 0
; COMPUTE_PGM_RSRC2:USER_SGPR: 4
; COMPUTE_PGM_RSRC2:TRAP_HANDLER: 0
; COMPUTE_PGM_RSRC2:TGID_X_EN: 1
; COMPUTE_PGM_RSRC2:TGID_Y_EN: 0
; COMPUTE_PGM_RSRC2:TGID_Z_EN: 0
; COMPUTE_PGM_RSRC2:TIDIG_COMP_CNT: 0
; COMPUTE_PGM_RSRC3_GFX90A:ACCUM_OFFSET: 0
; COMPUTE_PGM_RSRC3_GFX90A:TG_SPLIT: 0
	.section	.text._ZN5aiter50hadamard_rotate_activation_fp4quant_inplace_kernelIDF16_Li128ELb1ELi16EEEvPT_PKS1_iii,"axG",@progbits,_ZN5aiter50hadamard_rotate_activation_fp4quant_inplace_kernelIDF16_Li128ELb1ELi16EEEvPT_PKS1_iii,comdat
	.protected	_ZN5aiter50hadamard_rotate_activation_fp4quant_inplace_kernelIDF16_Li128ELb1ELi16EEEvPT_PKS1_iii ; -- Begin function _ZN5aiter50hadamard_rotate_activation_fp4quant_inplace_kernelIDF16_Li128ELb1ELi16EEEvPT_PKS1_iii
	.globl	_ZN5aiter50hadamard_rotate_activation_fp4quant_inplace_kernelIDF16_Li128ELb1ELi16EEEvPT_PKS1_iii
	.p2align	8
	.type	_ZN5aiter50hadamard_rotate_activation_fp4quant_inplace_kernelIDF16_Li128ELb1ELi16EEEvPT_PKS1_iii,@function
_ZN5aiter50hadamard_rotate_activation_fp4quant_inplace_kernelIDF16_Li128ELb1ELi16EEEvPT_PKS1_iii: ; @_ZN5aiter50hadamard_rotate_activation_fp4quant_inplace_kernelIDF16_Li128ELb1ELi16EEEvPT_PKS1_iii
; %bb.0:
	s_load_dwordx2 s[2:3], s[4:5], 0x10
	s_load_dwordx2 s[8:9], s[4:5], 0x0
	s_lshl_b32 s6, s6, 3
	s_mov_b32 s1, 0
	v_lshlrev_b32_e32 v4, 5, v0
	s_waitcnt lgkmcnt(0)
	s_sub_i32 s0, s2, s6
	s_lshl_b32 s7, s0, 8
	s_mul_i32 s0, s6, s3
	s_lshl_b64 s[4:5], s[0:1], 1
	s_add_u32 s4, s8, s4
	s_addc_u32 s0, s9, s5
	s_cmp_lt_u32 s2, s6
	s_cselect_b32 s6, s7, 0x800
	s_and_b32 s5, s0, 0xffff
	s_mov_b32 s0, s1
	s_mov_b32 s2, s1
	;; [unrolled: 1-line block ×3, first 2 shown]
	v_pk_mov_b32 v[0:1], s[0:1], s[0:1] op_sel:[0,1]
	s_mov_b32 s7, 0x20000
	v_pk_mov_b32 v[2:3], s[2:3], s[2:3] op_sel:[0,1]
	buffer_store_dwordx4 v[0:3], v4, s[4:7], 0 offen
	buffer_store_dwordx4 v[0:3], v4, s[4:7], 16 offen
	s_endpgm
	.section	.rodata,"a",@progbits
	.p2align	6, 0x0
	.amdhsa_kernel _ZN5aiter50hadamard_rotate_activation_fp4quant_inplace_kernelIDF16_Li128ELb1ELi16EEEvPT_PKS1_iii
		.amdhsa_group_segment_fixed_size 0
		.amdhsa_private_segment_fixed_size 0
		.amdhsa_kernarg_size 28
		.amdhsa_user_sgpr_count 6
		.amdhsa_user_sgpr_private_segment_buffer 1
		.amdhsa_user_sgpr_dispatch_ptr 0
		.amdhsa_user_sgpr_queue_ptr 0
		.amdhsa_user_sgpr_kernarg_segment_ptr 1
		.amdhsa_user_sgpr_dispatch_id 0
		.amdhsa_user_sgpr_flat_scratch_init 0
		.amdhsa_user_sgpr_kernarg_preload_length 0
		.amdhsa_user_sgpr_kernarg_preload_offset 0
		.amdhsa_user_sgpr_private_segment_size 0
		.amdhsa_uses_dynamic_stack 0
		.amdhsa_system_sgpr_private_segment_wavefront_offset 0
		.amdhsa_system_sgpr_workgroup_id_x 1
		.amdhsa_system_sgpr_workgroup_id_y 0
		.amdhsa_system_sgpr_workgroup_id_z 0
		.amdhsa_system_sgpr_workgroup_info 0
		.amdhsa_system_vgpr_workitem_id 0
		.amdhsa_next_free_vgpr 5
		.amdhsa_next_free_sgpr 10
		.amdhsa_accum_offset 8
		.amdhsa_reserve_vcc 0
		.amdhsa_reserve_flat_scratch 0
		.amdhsa_float_round_mode_32 0
		.amdhsa_float_round_mode_16_64 0
		.amdhsa_float_denorm_mode_32 3
		.amdhsa_float_denorm_mode_16_64 3
		.amdhsa_dx10_clamp 1
		.amdhsa_ieee_mode 1
		.amdhsa_fp16_overflow 0
		.amdhsa_tg_split 0
		.amdhsa_exception_fp_ieee_invalid_op 0
		.amdhsa_exception_fp_denorm_src 0
		.amdhsa_exception_fp_ieee_div_zero 0
		.amdhsa_exception_fp_ieee_overflow 0
		.amdhsa_exception_fp_ieee_underflow 0
		.amdhsa_exception_fp_ieee_inexact 0
		.amdhsa_exception_int_div_zero 0
	.end_amdhsa_kernel
	.section	.text._ZN5aiter50hadamard_rotate_activation_fp4quant_inplace_kernelIDF16_Li128ELb1ELi16EEEvPT_PKS1_iii,"axG",@progbits,_ZN5aiter50hadamard_rotate_activation_fp4quant_inplace_kernelIDF16_Li128ELb1ELi16EEEvPT_PKS1_iii,comdat
.Lfunc_end1:
	.size	_ZN5aiter50hadamard_rotate_activation_fp4quant_inplace_kernelIDF16_Li128ELb1ELi16EEEvPT_PKS1_iii, .Lfunc_end1-_ZN5aiter50hadamard_rotate_activation_fp4quant_inplace_kernelIDF16_Li128ELb1ELi16EEEvPT_PKS1_iii
                                        ; -- End function
	.section	.AMDGPU.csdata,"",@progbits
; Kernel info:
; codeLenInByte = 132
; NumSgprs: 14
; NumVgprs: 5
; NumAgprs: 0
; TotalNumVgprs: 5
; ScratchSize: 0
; MemoryBound: 0
; FloatMode: 240
; IeeeMode: 1
; LDSByteSize: 0 bytes/workgroup (compile time only)
; SGPRBlocks: 1
; VGPRBlocks: 0
; NumSGPRsForWavesPerEU: 14
; NumVGPRsForWavesPerEU: 5
; AccumOffset: 8
; Occupancy: 8
; WaveLimiterHint : 0
; COMPUTE_PGM_RSRC2:SCRATCH_EN: 0
; COMPUTE_PGM_RSRC2:USER_SGPR: 6
; COMPUTE_PGM_RSRC2:TRAP_HANDLER: 0
; COMPUTE_PGM_RSRC2:TGID_X_EN: 1
; COMPUTE_PGM_RSRC2:TGID_Y_EN: 0
; COMPUTE_PGM_RSRC2:TGID_Z_EN: 0
; COMPUTE_PGM_RSRC2:TIDIG_COMP_CNT: 0
; COMPUTE_PGM_RSRC3_GFX90A:ACCUM_OFFSET: 1
; COMPUTE_PGM_RSRC3_GFX90A:TG_SPLIT: 0
	.section	.text._ZN5aiter50hadamard_rotate_activation_fp4quant_inplace_kernelItLi128ELb1ELi16EEEvPT_PKS1_iii,"axG",@progbits,_ZN5aiter50hadamard_rotate_activation_fp4quant_inplace_kernelItLi128ELb1ELi16EEEvPT_PKS1_iii,comdat
	.protected	_ZN5aiter50hadamard_rotate_activation_fp4quant_inplace_kernelItLi128ELb1ELi16EEEvPT_PKS1_iii ; -- Begin function _ZN5aiter50hadamard_rotate_activation_fp4quant_inplace_kernelItLi128ELb1ELi16EEEvPT_PKS1_iii
	.globl	_ZN5aiter50hadamard_rotate_activation_fp4quant_inplace_kernelItLi128ELb1ELi16EEEvPT_PKS1_iii
	.p2align	8
	.type	_ZN5aiter50hadamard_rotate_activation_fp4quant_inplace_kernelItLi128ELb1ELi16EEEvPT_PKS1_iii,@function
_ZN5aiter50hadamard_rotate_activation_fp4quant_inplace_kernelItLi128ELb1ELi16EEEvPT_PKS1_iii: ; @_ZN5aiter50hadamard_rotate_activation_fp4quant_inplace_kernelItLi128ELb1ELi16EEEvPT_PKS1_iii
; %bb.0:
	s_load_dwordx2 s[2:3], s[4:5], 0x10
	s_load_dwordx2 s[8:9], s[4:5], 0x0
	s_lshl_b32 s6, s6, 3
	s_mov_b32 s1, 0
	v_lshlrev_b32_e32 v4, 5, v0
	s_waitcnt lgkmcnt(0)
	s_sub_i32 s0, s2, s6
	s_lshl_b32 s7, s0, 8
	s_mul_i32 s0, s6, s3
	s_lshl_b64 s[4:5], s[0:1], 1
	s_add_u32 s4, s8, s4
	s_addc_u32 s0, s9, s5
	s_cmp_lt_u32 s2, s6
	s_cselect_b32 s6, s7, 0x800
	s_and_b32 s5, s0, 0xffff
	s_mov_b32 s0, s1
	s_mov_b32 s2, s1
	;; [unrolled: 1-line block ×3, first 2 shown]
	v_pk_mov_b32 v[0:1], s[0:1], s[0:1] op_sel:[0,1]
	s_mov_b32 s7, 0x20000
	v_pk_mov_b32 v[2:3], s[2:3], s[2:3] op_sel:[0,1]
	buffer_store_dwordx4 v[0:3], v4, s[4:7], 0 offen
	buffer_store_dwordx4 v[0:3], v4, s[4:7], 16 offen
	s_endpgm
	.section	.rodata,"a",@progbits
	.p2align	6, 0x0
	.amdhsa_kernel _ZN5aiter50hadamard_rotate_activation_fp4quant_inplace_kernelItLi128ELb1ELi16EEEvPT_PKS1_iii
		.amdhsa_group_segment_fixed_size 0
		.amdhsa_private_segment_fixed_size 0
		.amdhsa_kernarg_size 28
		.amdhsa_user_sgpr_count 6
		.amdhsa_user_sgpr_private_segment_buffer 1
		.amdhsa_user_sgpr_dispatch_ptr 0
		.amdhsa_user_sgpr_queue_ptr 0
		.amdhsa_user_sgpr_kernarg_segment_ptr 1
		.amdhsa_user_sgpr_dispatch_id 0
		.amdhsa_user_sgpr_flat_scratch_init 0
		.amdhsa_user_sgpr_kernarg_preload_length 0
		.amdhsa_user_sgpr_kernarg_preload_offset 0
		.amdhsa_user_sgpr_private_segment_size 0
		.amdhsa_uses_dynamic_stack 0
		.amdhsa_system_sgpr_private_segment_wavefront_offset 0
		.amdhsa_system_sgpr_workgroup_id_x 1
		.amdhsa_system_sgpr_workgroup_id_y 0
		.amdhsa_system_sgpr_workgroup_id_z 0
		.amdhsa_system_sgpr_workgroup_info 0
		.amdhsa_system_vgpr_workitem_id 0
		.amdhsa_next_free_vgpr 5
		.amdhsa_next_free_sgpr 10
		.amdhsa_accum_offset 8
		.amdhsa_reserve_vcc 0
		.amdhsa_reserve_flat_scratch 0
		.amdhsa_float_round_mode_32 0
		.amdhsa_float_round_mode_16_64 0
		.amdhsa_float_denorm_mode_32 3
		.amdhsa_float_denorm_mode_16_64 3
		.amdhsa_dx10_clamp 1
		.amdhsa_ieee_mode 1
		.amdhsa_fp16_overflow 0
		.amdhsa_tg_split 0
		.amdhsa_exception_fp_ieee_invalid_op 0
		.amdhsa_exception_fp_denorm_src 0
		.amdhsa_exception_fp_ieee_div_zero 0
		.amdhsa_exception_fp_ieee_overflow 0
		.amdhsa_exception_fp_ieee_underflow 0
		.amdhsa_exception_fp_ieee_inexact 0
		.amdhsa_exception_int_div_zero 0
	.end_amdhsa_kernel
	.section	.text._ZN5aiter50hadamard_rotate_activation_fp4quant_inplace_kernelItLi128ELb1ELi16EEEvPT_PKS1_iii,"axG",@progbits,_ZN5aiter50hadamard_rotate_activation_fp4quant_inplace_kernelItLi128ELb1ELi16EEEvPT_PKS1_iii,comdat
.Lfunc_end2:
	.size	_ZN5aiter50hadamard_rotate_activation_fp4quant_inplace_kernelItLi128ELb1ELi16EEEvPT_PKS1_iii, .Lfunc_end2-_ZN5aiter50hadamard_rotate_activation_fp4quant_inplace_kernelItLi128ELb1ELi16EEEvPT_PKS1_iii
                                        ; -- End function
	.section	.AMDGPU.csdata,"",@progbits
; Kernel info:
; codeLenInByte = 132
; NumSgprs: 14
; NumVgprs: 5
; NumAgprs: 0
; TotalNumVgprs: 5
; ScratchSize: 0
; MemoryBound: 0
; FloatMode: 240
; IeeeMode: 1
; LDSByteSize: 0 bytes/workgroup (compile time only)
; SGPRBlocks: 1
; VGPRBlocks: 0
; NumSGPRsForWavesPerEU: 14
; NumVGPRsForWavesPerEU: 5
; AccumOffset: 8
; Occupancy: 8
; WaveLimiterHint : 0
; COMPUTE_PGM_RSRC2:SCRATCH_EN: 0
; COMPUTE_PGM_RSRC2:USER_SGPR: 6
; COMPUTE_PGM_RSRC2:TRAP_HANDLER: 0
; COMPUTE_PGM_RSRC2:TGID_X_EN: 1
; COMPUTE_PGM_RSRC2:TGID_Y_EN: 0
; COMPUTE_PGM_RSRC2:TGID_Z_EN: 0
; COMPUTE_PGM_RSRC2:TIDIG_COMP_CNT: 0
; COMPUTE_PGM_RSRC3_GFX90A:ACCUM_OFFSET: 1
; COMPUTE_PGM_RSRC3_GFX90A:TG_SPLIT: 0
	.section	.text._ZN5aiter50hadamard_rotate_activation_fp4quant_inplace_kernelIDF16_Li256ELb1ELi16EEEvPT_PKS1_iii,"axG",@progbits,_ZN5aiter50hadamard_rotate_activation_fp4quant_inplace_kernelIDF16_Li256ELb1ELi16EEEvPT_PKS1_iii,comdat
	.protected	_ZN5aiter50hadamard_rotate_activation_fp4quant_inplace_kernelIDF16_Li256ELb1ELi16EEEvPT_PKS1_iii ; -- Begin function _ZN5aiter50hadamard_rotate_activation_fp4quant_inplace_kernelIDF16_Li256ELb1ELi16EEEvPT_PKS1_iii
	.globl	_ZN5aiter50hadamard_rotate_activation_fp4quant_inplace_kernelIDF16_Li256ELb1ELi16EEEvPT_PKS1_iii
	.p2align	8
	.type	_ZN5aiter50hadamard_rotate_activation_fp4quant_inplace_kernelIDF16_Li256ELb1ELi16EEEvPT_PKS1_iii,@function
_ZN5aiter50hadamard_rotate_activation_fp4quant_inplace_kernelIDF16_Li256ELb1ELi16EEEvPT_PKS1_iii: ; @_ZN5aiter50hadamard_rotate_activation_fp4quant_inplace_kernelIDF16_Li256ELb1ELi16EEEvPT_PKS1_iii
; %bb.0:
	s_load_dwordx2 s[2:3], s[4:5], 0x10
	s_load_dwordx2 s[8:9], s[4:5], 0x0
	s_lshl_b32 s6, s6, 2
	s_mov_b32 s1, 0
	v_lshlrev_b32_e32 v4, 5, v0
	s_waitcnt lgkmcnt(0)
	s_sub_i32 s0, s2, s6
	s_lshl_b32 s7, s0, 9
	s_mul_i32 s0, s6, s3
	s_lshl_b64 s[4:5], s[0:1], 1
	s_add_u32 s4, s8, s4
	s_addc_u32 s0, s9, s5
	s_cmp_lt_u32 s2, s6
	s_cselect_b32 s6, s7, 0x800
	s_and_b32 s5, s0, 0xffff
	s_mov_b32 s0, s1
	s_mov_b32 s2, s1
	;; [unrolled: 1-line block ×3, first 2 shown]
	v_pk_mov_b32 v[0:1], s[0:1], s[0:1] op_sel:[0,1]
	s_mov_b32 s7, 0x20000
	v_pk_mov_b32 v[2:3], s[2:3], s[2:3] op_sel:[0,1]
	buffer_store_dwordx4 v[0:3], v4, s[4:7], 0 offen
	buffer_store_dwordx4 v[0:3], v4, s[4:7], 16 offen
	s_endpgm
	.section	.rodata,"a",@progbits
	.p2align	6, 0x0
	.amdhsa_kernel _ZN5aiter50hadamard_rotate_activation_fp4quant_inplace_kernelIDF16_Li256ELb1ELi16EEEvPT_PKS1_iii
		.amdhsa_group_segment_fixed_size 0
		.amdhsa_private_segment_fixed_size 0
		.amdhsa_kernarg_size 28
		.amdhsa_user_sgpr_count 6
		.amdhsa_user_sgpr_private_segment_buffer 1
		.amdhsa_user_sgpr_dispatch_ptr 0
		.amdhsa_user_sgpr_queue_ptr 0
		.amdhsa_user_sgpr_kernarg_segment_ptr 1
		.amdhsa_user_sgpr_dispatch_id 0
		.amdhsa_user_sgpr_flat_scratch_init 0
		.amdhsa_user_sgpr_kernarg_preload_length 0
		.amdhsa_user_sgpr_kernarg_preload_offset 0
		.amdhsa_user_sgpr_private_segment_size 0
		.amdhsa_uses_dynamic_stack 0
		.amdhsa_system_sgpr_private_segment_wavefront_offset 0
		.amdhsa_system_sgpr_workgroup_id_x 1
		.amdhsa_system_sgpr_workgroup_id_y 0
		.amdhsa_system_sgpr_workgroup_id_z 0
		.amdhsa_system_sgpr_workgroup_info 0
		.amdhsa_system_vgpr_workitem_id 0
		.amdhsa_next_free_vgpr 5
		.amdhsa_next_free_sgpr 10
		.amdhsa_accum_offset 8
		.amdhsa_reserve_vcc 0
		.amdhsa_reserve_flat_scratch 0
		.amdhsa_float_round_mode_32 0
		.amdhsa_float_round_mode_16_64 0
		.amdhsa_float_denorm_mode_32 3
		.amdhsa_float_denorm_mode_16_64 3
		.amdhsa_dx10_clamp 1
		.amdhsa_ieee_mode 1
		.amdhsa_fp16_overflow 0
		.amdhsa_tg_split 0
		.amdhsa_exception_fp_ieee_invalid_op 0
		.amdhsa_exception_fp_denorm_src 0
		.amdhsa_exception_fp_ieee_div_zero 0
		.amdhsa_exception_fp_ieee_overflow 0
		.amdhsa_exception_fp_ieee_underflow 0
		.amdhsa_exception_fp_ieee_inexact 0
		.amdhsa_exception_int_div_zero 0
	.end_amdhsa_kernel
	.section	.text._ZN5aiter50hadamard_rotate_activation_fp4quant_inplace_kernelIDF16_Li256ELb1ELi16EEEvPT_PKS1_iii,"axG",@progbits,_ZN5aiter50hadamard_rotate_activation_fp4quant_inplace_kernelIDF16_Li256ELb1ELi16EEEvPT_PKS1_iii,comdat
.Lfunc_end3:
	.size	_ZN5aiter50hadamard_rotate_activation_fp4quant_inplace_kernelIDF16_Li256ELb1ELi16EEEvPT_PKS1_iii, .Lfunc_end3-_ZN5aiter50hadamard_rotate_activation_fp4quant_inplace_kernelIDF16_Li256ELb1ELi16EEEvPT_PKS1_iii
                                        ; -- End function
	.section	.AMDGPU.csdata,"",@progbits
; Kernel info:
; codeLenInByte = 132
; NumSgprs: 14
; NumVgprs: 5
; NumAgprs: 0
; TotalNumVgprs: 5
; ScratchSize: 0
; MemoryBound: 0
; FloatMode: 240
; IeeeMode: 1
; LDSByteSize: 0 bytes/workgroup (compile time only)
; SGPRBlocks: 1
; VGPRBlocks: 0
; NumSGPRsForWavesPerEU: 14
; NumVGPRsForWavesPerEU: 5
; AccumOffset: 8
; Occupancy: 8
; WaveLimiterHint : 0
; COMPUTE_PGM_RSRC2:SCRATCH_EN: 0
; COMPUTE_PGM_RSRC2:USER_SGPR: 6
; COMPUTE_PGM_RSRC2:TRAP_HANDLER: 0
; COMPUTE_PGM_RSRC2:TGID_X_EN: 1
; COMPUTE_PGM_RSRC2:TGID_Y_EN: 0
; COMPUTE_PGM_RSRC2:TGID_Z_EN: 0
; COMPUTE_PGM_RSRC2:TIDIG_COMP_CNT: 0
; COMPUTE_PGM_RSRC3_GFX90A:ACCUM_OFFSET: 1
; COMPUTE_PGM_RSRC3_GFX90A:TG_SPLIT: 0
	.section	.text._ZN5aiter50hadamard_rotate_activation_fp4quant_inplace_kernelItLi256ELb1ELi16EEEvPT_PKS1_iii,"axG",@progbits,_ZN5aiter50hadamard_rotate_activation_fp4quant_inplace_kernelItLi256ELb1ELi16EEEvPT_PKS1_iii,comdat
	.protected	_ZN5aiter50hadamard_rotate_activation_fp4quant_inplace_kernelItLi256ELb1ELi16EEEvPT_PKS1_iii ; -- Begin function _ZN5aiter50hadamard_rotate_activation_fp4quant_inplace_kernelItLi256ELb1ELi16EEEvPT_PKS1_iii
	.globl	_ZN5aiter50hadamard_rotate_activation_fp4quant_inplace_kernelItLi256ELb1ELi16EEEvPT_PKS1_iii
	.p2align	8
	.type	_ZN5aiter50hadamard_rotate_activation_fp4quant_inplace_kernelItLi256ELb1ELi16EEEvPT_PKS1_iii,@function
_ZN5aiter50hadamard_rotate_activation_fp4quant_inplace_kernelItLi256ELb1ELi16EEEvPT_PKS1_iii: ; @_ZN5aiter50hadamard_rotate_activation_fp4quant_inplace_kernelItLi256ELb1ELi16EEEvPT_PKS1_iii
; %bb.0:
	s_load_dwordx2 s[2:3], s[4:5], 0x10
	s_load_dwordx2 s[8:9], s[4:5], 0x0
	s_lshl_b32 s6, s6, 2
	s_mov_b32 s1, 0
	v_lshlrev_b32_e32 v4, 5, v0
	s_waitcnt lgkmcnt(0)
	s_sub_i32 s0, s2, s6
	s_lshl_b32 s7, s0, 9
	s_mul_i32 s0, s6, s3
	s_lshl_b64 s[4:5], s[0:1], 1
	s_add_u32 s4, s8, s4
	s_addc_u32 s0, s9, s5
	s_cmp_lt_u32 s2, s6
	s_cselect_b32 s6, s7, 0x800
	s_and_b32 s5, s0, 0xffff
	s_mov_b32 s0, s1
	s_mov_b32 s2, s1
	s_mov_b32 s3, s1
	v_pk_mov_b32 v[0:1], s[0:1], s[0:1] op_sel:[0,1]
	s_mov_b32 s7, 0x20000
	v_pk_mov_b32 v[2:3], s[2:3], s[2:3] op_sel:[0,1]
	buffer_store_dwordx4 v[0:3], v4, s[4:7], 0 offen
	buffer_store_dwordx4 v[0:3], v4, s[4:7], 16 offen
	s_endpgm
	.section	.rodata,"a",@progbits
	.p2align	6, 0x0
	.amdhsa_kernel _ZN5aiter50hadamard_rotate_activation_fp4quant_inplace_kernelItLi256ELb1ELi16EEEvPT_PKS1_iii
		.amdhsa_group_segment_fixed_size 0
		.amdhsa_private_segment_fixed_size 0
		.amdhsa_kernarg_size 28
		.amdhsa_user_sgpr_count 6
		.amdhsa_user_sgpr_private_segment_buffer 1
		.amdhsa_user_sgpr_dispatch_ptr 0
		.amdhsa_user_sgpr_queue_ptr 0
		.amdhsa_user_sgpr_kernarg_segment_ptr 1
		.amdhsa_user_sgpr_dispatch_id 0
		.amdhsa_user_sgpr_flat_scratch_init 0
		.amdhsa_user_sgpr_kernarg_preload_length 0
		.amdhsa_user_sgpr_kernarg_preload_offset 0
		.amdhsa_user_sgpr_private_segment_size 0
		.amdhsa_uses_dynamic_stack 0
		.amdhsa_system_sgpr_private_segment_wavefront_offset 0
		.amdhsa_system_sgpr_workgroup_id_x 1
		.amdhsa_system_sgpr_workgroup_id_y 0
		.amdhsa_system_sgpr_workgroup_id_z 0
		.amdhsa_system_sgpr_workgroup_info 0
		.amdhsa_system_vgpr_workitem_id 0
		.amdhsa_next_free_vgpr 5
		.amdhsa_next_free_sgpr 10
		.amdhsa_accum_offset 8
		.amdhsa_reserve_vcc 0
		.amdhsa_reserve_flat_scratch 0
		.amdhsa_float_round_mode_32 0
		.amdhsa_float_round_mode_16_64 0
		.amdhsa_float_denorm_mode_32 3
		.amdhsa_float_denorm_mode_16_64 3
		.amdhsa_dx10_clamp 1
		.amdhsa_ieee_mode 1
		.amdhsa_fp16_overflow 0
		.amdhsa_tg_split 0
		.amdhsa_exception_fp_ieee_invalid_op 0
		.amdhsa_exception_fp_denorm_src 0
		.amdhsa_exception_fp_ieee_div_zero 0
		.amdhsa_exception_fp_ieee_overflow 0
		.amdhsa_exception_fp_ieee_underflow 0
		.amdhsa_exception_fp_ieee_inexact 0
		.amdhsa_exception_int_div_zero 0
	.end_amdhsa_kernel
	.section	.text._ZN5aiter50hadamard_rotate_activation_fp4quant_inplace_kernelItLi256ELb1ELi16EEEvPT_PKS1_iii,"axG",@progbits,_ZN5aiter50hadamard_rotate_activation_fp4quant_inplace_kernelItLi256ELb1ELi16EEEvPT_PKS1_iii,comdat
.Lfunc_end4:
	.size	_ZN5aiter50hadamard_rotate_activation_fp4quant_inplace_kernelItLi256ELb1ELi16EEEvPT_PKS1_iii, .Lfunc_end4-_ZN5aiter50hadamard_rotate_activation_fp4quant_inplace_kernelItLi256ELb1ELi16EEEvPT_PKS1_iii
                                        ; -- End function
	.section	.AMDGPU.csdata,"",@progbits
; Kernel info:
; codeLenInByte = 132
; NumSgprs: 14
; NumVgprs: 5
; NumAgprs: 0
; TotalNumVgprs: 5
; ScratchSize: 0
; MemoryBound: 0
; FloatMode: 240
; IeeeMode: 1
; LDSByteSize: 0 bytes/workgroup (compile time only)
; SGPRBlocks: 1
; VGPRBlocks: 0
; NumSGPRsForWavesPerEU: 14
; NumVGPRsForWavesPerEU: 5
; AccumOffset: 8
; Occupancy: 8
; WaveLimiterHint : 0
; COMPUTE_PGM_RSRC2:SCRATCH_EN: 0
; COMPUTE_PGM_RSRC2:USER_SGPR: 6
; COMPUTE_PGM_RSRC2:TRAP_HANDLER: 0
; COMPUTE_PGM_RSRC2:TGID_X_EN: 1
; COMPUTE_PGM_RSRC2:TGID_Y_EN: 0
; COMPUTE_PGM_RSRC2:TGID_Z_EN: 0
; COMPUTE_PGM_RSRC2:TIDIG_COMP_CNT: 0
; COMPUTE_PGM_RSRC3_GFX90A:ACCUM_OFFSET: 1
; COMPUTE_PGM_RSRC3_GFX90A:TG_SPLIT: 0
	.section	.text._ZN5aiter50hadamard_rotate_activation_fp4quant_inplace_kernelIDF16_Li512ELb1ELi16EEEvPT_PKS1_iii,"axG",@progbits,_ZN5aiter50hadamard_rotate_activation_fp4quant_inplace_kernelIDF16_Li512ELb1ELi16EEEvPT_PKS1_iii,comdat
	.protected	_ZN5aiter50hadamard_rotate_activation_fp4quant_inplace_kernelIDF16_Li512ELb1ELi16EEEvPT_PKS1_iii ; -- Begin function _ZN5aiter50hadamard_rotate_activation_fp4quant_inplace_kernelIDF16_Li512ELb1ELi16EEEvPT_PKS1_iii
	.globl	_ZN5aiter50hadamard_rotate_activation_fp4quant_inplace_kernelIDF16_Li512ELb1ELi16EEEvPT_PKS1_iii
	.p2align	8
	.type	_ZN5aiter50hadamard_rotate_activation_fp4quant_inplace_kernelIDF16_Li512ELb1ELi16EEEvPT_PKS1_iii,@function
_ZN5aiter50hadamard_rotate_activation_fp4quant_inplace_kernelIDF16_Li512ELb1ELi16EEEvPT_PKS1_iii: ; @_ZN5aiter50hadamard_rotate_activation_fp4quant_inplace_kernelIDF16_Li512ELb1ELi16EEEvPT_PKS1_iii
; %bb.0:
	s_load_dwordx2 s[2:3], s[4:5], 0x10
	s_load_dwordx2 s[8:9], s[4:5], 0x0
	s_lshl_b32 s6, s6, 1
	s_mov_b32 s1, 0
	v_lshlrev_b32_e32 v4, 5, v0
	s_waitcnt lgkmcnt(0)
	s_sub_i32 s0, s2, s6
	s_lshl_b32 s7, s0, 10
	s_mul_i32 s0, s6, s3
	s_lshl_b64 s[4:5], s[0:1], 1
	s_add_u32 s4, s8, s4
	s_addc_u32 s0, s9, s5
	s_cmp_lt_u32 s2, s6
	s_cselect_b32 s6, s7, 0x800
	s_and_b32 s5, s0, 0xffff
	s_mov_b32 s0, s1
	s_mov_b32 s2, s1
	;; [unrolled: 1-line block ×3, first 2 shown]
	v_pk_mov_b32 v[0:1], s[0:1], s[0:1] op_sel:[0,1]
	s_mov_b32 s7, 0x20000
	v_pk_mov_b32 v[2:3], s[2:3], s[2:3] op_sel:[0,1]
	buffer_store_dwordx4 v[0:3], v4, s[4:7], 0 offen
	buffer_store_dwordx4 v[0:3], v4, s[4:7], 16 offen
	s_endpgm
	.section	.rodata,"a",@progbits
	.p2align	6, 0x0
	.amdhsa_kernel _ZN5aiter50hadamard_rotate_activation_fp4quant_inplace_kernelIDF16_Li512ELb1ELi16EEEvPT_PKS1_iii
		.amdhsa_group_segment_fixed_size 0
		.amdhsa_private_segment_fixed_size 0
		.amdhsa_kernarg_size 28
		.amdhsa_user_sgpr_count 6
		.amdhsa_user_sgpr_private_segment_buffer 1
		.amdhsa_user_sgpr_dispatch_ptr 0
		.amdhsa_user_sgpr_queue_ptr 0
		.amdhsa_user_sgpr_kernarg_segment_ptr 1
		.amdhsa_user_sgpr_dispatch_id 0
		.amdhsa_user_sgpr_flat_scratch_init 0
		.amdhsa_user_sgpr_kernarg_preload_length 0
		.amdhsa_user_sgpr_kernarg_preload_offset 0
		.amdhsa_user_sgpr_private_segment_size 0
		.amdhsa_uses_dynamic_stack 0
		.amdhsa_system_sgpr_private_segment_wavefront_offset 0
		.amdhsa_system_sgpr_workgroup_id_x 1
		.amdhsa_system_sgpr_workgroup_id_y 0
		.amdhsa_system_sgpr_workgroup_id_z 0
		.amdhsa_system_sgpr_workgroup_info 0
		.amdhsa_system_vgpr_workitem_id 0
		.amdhsa_next_free_vgpr 5
		.amdhsa_next_free_sgpr 10
		.amdhsa_accum_offset 8
		.amdhsa_reserve_vcc 0
		.amdhsa_reserve_flat_scratch 0
		.amdhsa_float_round_mode_32 0
		.amdhsa_float_round_mode_16_64 0
		.amdhsa_float_denorm_mode_32 3
		.amdhsa_float_denorm_mode_16_64 3
		.amdhsa_dx10_clamp 1
		.amdhsa_ieee_mode 1
		.amdhsa_fp16_overflow 0
		.amdhsa_tg_split 0
		.amdhsa_exception_fp_ieee_invalid_op 0
		.amdhsa_exception_fp_denorm_src 0
		.amdhsa_exception_fp_ieee_div_zero 0
		.amdhsa_exception_fp_ieee_overflow 0
		.amdhsa_exception_fp_ieee_underflow 0
		.amdhsa_exception_fp_ieee_inexact 0
		.amdhsa_exception_int_div_zero 0
	.end_amdhsa_kernel
	.section	.text._ZN5aiter50hadamard_rotate_activation_fp4quant_inplace_kernelIDF16_Li512ELb1ELi16EEEvPT_PKS1_iii,"axG",@progbits,_ZN5aiter50hadamard_rotate_activation_fp4quant_inplace_kernelIDF16_Li512ELb1ELi16EEEvPT_PKS1_iii,comdat
.Lfunc_end5:
	.size	_ZN5aiter50hadamard_rotate_activation_fp4quant_inplace_kernelIDF16_Li512ELb1ELi16EEEvPT_PKS1_iii, .Lfunc_end5-_ZN5aiter50hadamard_rotate_activation_fp4quant_inplace_kernelIDF16_Li512ELb1ELi16EEEvPT_PKS1_iii
                                        ; -- End function
	.section	.AMDGPU.csdata,"",@progbits
; Kernel info:
; codeLenInByte = 132
; NumSgprs: 14
; NumVgprs: 5
; NumAgprs: 0
; TotalNumVgprs: 5
; ScratchSize: 0
; MemoryBound: 0
; FloatMode: 240
; IeeeMode: 1
; LDSByteSize: 0 bytes/workgroup (compile time only)
; SGPRBlocks: 1
; VGPRBlocks: 0
; NumSGPRsForWavesPerEU: 14
; NumVGPRsForWavesPerEU: 5
; AccumOffset: 8
; Occupancy: 8
; WaveLimiterHint : 0
; COMPUTE_PGM_RSRC2:SCRATCH_EN: 0
; COMPUTE_PGM_RSRC2:USER_SGPR: 6
; COMPUTE_PGM_RSRC2:TRAP_HANDLER: 0
; COMPUTE_PGM_RSRC2:TGID_X_EN: 1
; COMPUTE_PGM_RSRC2:TGID_Y_EN: 0
; COMPUTE_PGM_RSRC2:TGID_Z_EN: 0
; COMPUTE_PGM_RSRC2:TIDIG_COMP_CNT: 0
; COMPUTE_PGM_RSRC3_GFX90A:ACCUM_OFFSET: 1
; COMPUTE_PGM_RSRC3_GFX90A:TG_SPLIT: 0
	.section	.text._ZN5aiter50hadamard_rotate_activation_fp4quant_inplace_kernelItLi512ELb1ELi16EEEvPT_PKS1_iii,"axG",@progbits,_ZN5aiter50hadamard_rotate_activation_fp4quant_inplace_kernelItLi512ELb1ELi16EEEvPT_PKS1_iii,comdat
	.protected	_ZN5aiter50hadamard_rotate_activation_fp4quant_inplace_kernelItLi512ELb1ELi16EEEvPT_PKS1_iii ; -- Begin function _ZN5aiter50hadamard_rotate_activation_fp4quant_inplace_kernelItLi512ELb1ELi16EEEvPT_PKS1_iii
	.globl	_ZN5aiter50hadamard_rotate_activation_fp4quant_inplace_kernelItLi512ELb1ELi16EEEvPT_PKS1_iii
	.p2align	8
	.type	_ZN5aiter50hadamard_rotate_activation_fp4quant_inplace_kernelItLi512ELb1ELi16EEEvPT_PKS1_iii,@function
_ZN5aiter50hadamard_rotate_activation_fp4quant_inplace_kernelItLi512ELb1ELi16EEEvPT_PKS1_iii: ; @_ZN5aiter50hadamard_rotate_activation_fp4quant_inplace_kernelItLi512ELb1ELi16EEEvPT_PKS1_iii
; %bb.0:
	s_load_dwordx2 s[2:3], s[4:5], 0x10
	s_load_dwordx2 s[8:9], s[4:5], 0x0
	s_lshl_b32 s6, s6, 1
	s_mov_b32 s1, 0
	v_lshlrev_b32_e32 v4, 5, v0
	s_waitcnt lgkmcnt(0)
	s_sub_i32 s0, s2, s6
	s_lshl_b32 s7, s0, 10
	s_mul_i32 s0, s6, s3
	s_lshl_b64 s[4:5], s[0:1], 1
	s_add_u32 s4, s8, s4
	s_addc_u32 s0, s9, s5
	s_cmp_lt_u32 s2, s6
	s_cselect_b32 s6, s7, 0x800
	s_and_b32 s5, s0, 0xffff
	s_mov_b32 s0, s1
	s_mov_b32 s2, s1
	;; [unrolled: 1-line block ×3, first 2 shown]
	v_pk_mov_b32 v[0:1], s[0:1], s[0:1] op_sel:[0,1]
	s_mov_b32 s7, 0x20000
	v_pk_mov_b32 v[2:3], s[2:3], s[2:3] op_sel:[0,1]
	buffer_store_dwordx4 v[0:3], v4, s[4:7], 0 offen
	buffer_store_dwordx4 v[0:3], v4, s[4:7], 16 offen
	s_endpgm
	.section	.rodata,"a",@progbits
	.p2align	6, 0x0
	.amdhsa_kernel _ZN5aiter50hadamard_rotate_activation_fp4quant_inplace_kernelItLi512ELb1ELi16EEEvPT_PKS1_iii
		.amdhsa_group_segment_fixed_size 0
		.amdhsa_private_segment_fixed_size 0
		.amdhsa_kernarg_size 28
		.amdhsa_user_sgpr_count 6
		.amdhsa_user_sgpr_private_segment_buffer 1
		.amdhsa_user_sgpr_dispatch_ptr 0
		.amdhsa_user_sgpr_queue_ptr 0
		.amdhsa_user_sgpr_kernarg_segment_ptr 1
		.amdhsa_user_sgpr_dispatch_id 0
		.amdhsa_user_sgpr_flat_scratch_init 0
		.amdhsa_user_sgpr_kernarg_preload_length 0
		.amdhsa_user_sgpr_kernarg_preload_offset 0
		.amdhsa_user_sgpr_private_segment_size 0
		.amdhsa_uses_dynamic_stack 0
		.amdhsa_system_sgpr_private_segment_wavefront_offset 0
		.amdhsa_system_sgpr_workgroup_id_x 1
		.amdhsa_system_sgpr_workgroup_id_y 0
		.amdhsa_system_sgpr_workgroup_id_z 0
		.amdhsa_system_sgpr_workgroup_info 0
		.amdhsa_system_vgpr_workitem_id 0
		.amdhsa_next_free_vgpr 5
		.amdhsa_next_free_sgpr 10
		.amdhsa_accum_offset 8
		.amdhsa_reserve_vcc 0
		.amdhsa_reserve_flat_scratch 0
		.amdhsa_float_round_mode_32 0
		.amdhsa_float_round_mode_16_64 0
		.amdhsa_float_denorm_mode_32 3
		.amdhsa_float_denorm_mode_16_64 3
		.amdhsa_dx10_clamp 1
		.amdhsa_ieee_mode 1
		.amdhsa_fp16_overflow 0
		.amdhsa_tg_split 0
		.amdhsa_exception_fp_ieee_invalid_op 0
		.amdhsa_exception_fp_denorm_src 0
		.amdhsa_exception_fp_ieee_div_zero 0
		.amdhsa_exception_fp_ieee_overflow 0
		.amdhsa_exception_fp_ieee_underflow 0
		.amdhsa_exception_fp_ieee_inexact 0
		.amdhsa_exception_int_div_zero 0
	.end_amdhsa_kernel
	.section	.text._ZN5aiter50hadamard_rotate_activation_fp4quant_inplace_kernelItLi512ELb1ELi16EEEvPT_PKS1_iii,"axG",@progbits,_ZN5aiter50hadamard_rotate_activation_fp4quant_inplace_kernelItLi512ELb1ELi16EEEvPT_PKS1_iii,comdat
.Lfunc_end6:
	.size	_ZN5aiter50hadamard_rotate_activation_fp4quant_inplace_kernelItLi512ELb1ELi16EEEvPT_PKS1_iii, .Lfunc_end6-_ZN5aiter50hadamard_rotate_activation_fp4quant_inplace_kernelItLi512ELb1ELi16EEEvPT_PKS1_iii
                                        ; -- End function
	.section	.AMDGPU.csdata,"",@progbits
; Kernel info:
; codeLenInByte = 132
; NumSgprs: 14
; NumVgprs: 5
; NumAgprs: 0
; TotalNumVgprs: 5
; ScratchSize: 0
; MemoryBound: 0
; FloatMode: 240
; IeeeMode: 1
; LDSByteSize: 0 bytes/workgroup (compile time only)
; SGPRBlocks: 1
; VGPRBlocks: 0
; NumSGPRsForWavesPerEU: 14
; NumVGPRsForWavesPerEU: 5
; AccumOffset: 8
; Occupancy: 8
; WaveLimiterHint : 0
; COMPUTE_PGM_RSRC2:SCRATCH_EN: 0
; COMPUTE_PGM_RSRC2:USER_SGPR: 6
; COMPUTE_PGM_RSRC2:TRAP_HANDLER: 0
; COMPUTE_PGM_RSRC2:TGID_X_EN: 1
; COMPUTE_PGM_RSRC2:TGID_Y_EN: 0
; COMPUTE_PGM_RSRC2:TGID_Z_EN: 0
; COMPUTE_PGM_RSRC2:TIDIG_COMP_CNT: 0
; COMPUTE_PGM_RSRC3_GFX90A:ACCUM_OFFSET: 1
; COMPUTE_PGM_RSRC3_GFX90A:TG_SPLIT: 0
	.section	.text._ZN5aiter50hadamard_rotate_activation_fp4quant_inplace_kernelIDF16_Li1024ELb1ELi32EEEvPT_PKS1_iii,"axG",@progbits,_ZN5aiter50hadamard_rotate_activation_fp4quant_inplace_kernelIDF16_Li1024ELb1ELi32EEEvPT_PKS1_iii,comdat
	.protected	_ZN5aiter50hadamard_rotate_activation_fp4quant_inplace_kernelIDF16_Li1024ELb1ELi32EEEvPT_PKS1_iii ; -- Begin function _ZN5aiter50hadamard_rotate_activation_fp4quant_inplace_kernelIDF16_Li1024ELb1ELi32EEEvPT_PKS1_iii
	.globl	_ZN5aiter50hadamard_rotate_activation_fp4quant_inplace_kernelIDF16_Li1024ELb1ELi32EEEvPT_PKS1_iii
	.p2align	8
	.type	_ZN5aiter50hadamard_rotate_activation_fp4quant_inplace_kernelIDF16_Li1024ELb1ELi32EEEvPT_PKS1_iii,@function
_ZN5aiter50hadamard_rotate_activation_fp4quant_inplace_kernelIDF16_Li1024ELb1ELi32EEEvPT_PKS1_iii: ; @_ZN5aiter50hadamard_rotate_activation_fp4quant_inplace_kernelIDF16_Li1024ELb1ELi32EEEvPT_PKS1_iii
; %bb.0:
	s_load_dwordx2 s[2:3], s[4:5], 0x10
	s_load_dwordx2 s[8:9], s[4:5], 0x0
	s_lshl_b32 s6, s6, 1
	s_mov_b32 s1, 0
	v_lshlrev_b32_e32 v4, 6, v0
	s_waitcnt lgkmcnt(0)
	s_sub_i32 s0, s2, s6
	s_lshl_b32 s7, s0, 11
	s_mul_i32 s0, s6, s3
	s_lshl_b64 s[4:5], s[0:1], 1
	s_add_u32 s4, s8, s4
	s_addc_u32 s0, s9, s5
	s_cmp_lt_u32 s2, s6
	s_cselect_b32 s6, s7, 0x1000
	s_and_b32 s5, s0, 0xffff
	s_mov_b32 s0, s1
	s_mov_b32 s2, s1
	;; [unrolled: 1-line block ×3, first 2 shown]
	v_pk_mov_b32 v[0:1], s[0:1], s[0:1] op_sel:[0,1]
	s_mov_b32 s7, 0x20000
	v_pk_mov_b32 v[2:3], s[2:3], s[2:3] op_sel:[0,1]
	buffer_store_dwordx4 v[0:3], v4, s[4:7], 0 offen
	buffer_store_dwordx4 v[0:3], v4, s[4:7], 16 offen
	;; [unrolled: 1-line block ×4, first 2 shown]
	s_endpgm
	.section	.rodata,"a",@progbits
	.p2align	6, 0x0
	.amdhsa_kernel _ZN5aiter50hadamard_rotate_activation_fp4quant_inplace_kernelIDF16_Li1024ELb1ELi32EEEvPT_PKS1_iii
		.amdhsa_group_segment_fixed_size 0
		.amdhsa_private_segment_fixed_size 0
		.amdhsa_kernarg_size 28
		.amdhsa_user_sgpr_count 6
		.amdhsa_user_sgpr_private_segment_buffer 1
		.amdhsa_user_sgpr_dispatch_ptr 0
		.amdhsa_user_sgpr_queue_ptr 0
		.amdhsa_user_sgpr_kernarg_segment_ptr 1
		.amdhsa_user_sgpr_dispatch_id 0
		.amdhsa_user_sgpr_flat_scratch_init 0
		.amdhsa_user_sgpr_kernarg_preload_length 0
		.amdhsa_user_sgpr_kernarg_preload_offset 0
		.amdhsa_user_sgpr_private_segment_size 0
		.amdhsa_uses_dynamic_stack 0
		.amdhsa_system_sgpr_private_segment_wavefront_offset 0
		.amdhsa_system_sgpr_workgroup_id_x 1
		.amdhsa_system_sgpr_workgroup_id_y 0
		.amdhsa_system_sgpr_workgroup_id_z 0
		.amdhsa_system_sgpr_workgroup_info 0
		.amdhsa_system_vgpr_workitem_id 0
		.amdhsa_next_free_vgpr 5
		.amdhsa_next_free_sgpr 10
		.amdhsa_accum_offset 8
		.amdhsa_reserve_vcc 0
		.amdhsa_reserve_flat_scratch 0
		.amdhsa_float_round_mode_32 0
		.amdhsa_float_round_mode_16_64 0
		.amdhsa_float_denorm_mode_32 3
		.amdhsa_float_denorm_mode_16_64 3
		.amdhsa_dx10_clamp 1
		.amdhsa_ieee_mode 1
		.amdhsa_fp16_overflow 0
		.amdhsa_tg_split 0
		.amdhsa_exception_fp_ieee_invalid_op 0
		.amdhsa_exception_fp_denorm_src 0
		.amdhsa_exception_fp_ieee_div_zero 0
		.amdhsa_exception_fp_ieee_overflow 0
		.amdhsa_exception_fp_ieee_underflow 0
		.amdhsa_exception_fp_ieee_inexact 0
		.amdhsa_exception_int_div_zero 0
	.end_amdhsa_kernel
	.section	.text._ZN5aiter50hadamard_rotate_activation_fp4quant_inplace_kernelIDF16_Li1024ELb1ELi32EEEvPT_PKS1_iii,"axG",@progbits,_ZN5aiter50hadamard_rotate_activation_fp4quant_inplace_kernelIDF16_Li1024ELb1ELi32EEEvPT_PKS1_iii,comdat
.Lfunc_end7:
	.size	_ZN5aiter50hadamard_rotate_activation_fp4quant_inplace_kernelIDF16_Li1024ELb1ELi32EEEvPT_PKS1_iii, .Lfunc_end7-_ZN5aiter50hadamard_rotate_activation_fp4quant_inplace_kernelIDF16_Li1024ELb1ELi32EEEvPT_PKS1_iii
                                        ; -- End function
	.section	.AMDGPU.csdata,"",@progbits
; Kernel info:
; codeLenInByte = 148
; NumSgprs: 14
; NumVgprs: 5
; NumAgprs: 0
; TotalNumVgprs: 5
; ScratchSize: 0
; MemoryBound: 0
; FloatMode: 240
; IeeeMode: 1
; LDSByteSize: 0 bytes/workgroup (compile time only)
; SGPRBlocks: 1
; VGPRBlocks: 0
; NumSGPRsForWavesPerEU: 14
; NumVGPRsForWavesPerEU: 5
; AccumOffset: 8
; Occupancy: 8
; WaveLimiterHint : 0
; COMPUTE_PGM_RSRC2:SCRATCH_EN: 0
; COMPUTE_PGM_RSRC2:USER_SGPR: 6
; COMPUTE_PGM_RSRC2:TRAP_HANDLER: 0
; COMPUTE_PGM_RSRC2:TGID_X_EN: 1
; COMPUTE_PGM_RSRC2:TGID_Y_EN: 0
; COMPUTE_PGM_RSRC2:TGID_Z_EN: 0
; COMPUTE_PGM_RSRC2:TIDIG_COMP_CNT: 0
; COMPUTE_PGM_RSRC3_GFX90A:ACCUM_OFFSET: 1
; COMPUTE_PGM_RSRC3_GFX90A:TG_SPLIT: 0
	.section	.text._ZN5aiter50hadamard_rotate_activation_fp4quant_inplace_kernelItLi1024ELb1ELi32EEEvPT_PKS1_iii,"axG",@progbits,_ZN5aiter50hadamard_rotate_activation_fp4quant_inplace_kernelItLi1024ELb1ELi32EEEvPT_PKS1_iii,comdat
	.protected	_ZN5aiter50hadamard_rotate_activation_fp4quant_inplace_kernelItLi1024ELb1ELi32EEEvPT_PKS1_iii ; -- Begin function _ZN5aiter50hadamard_rotate_activation_fp4quant_inplace_kernelItLi1024ELb1ELi32EEEvPT_PKS1_iii
	.globl	_ZN5aiter50hadamard_rotate_activation_fp4quant_inplace_kernelItLi1024ELb1ELi32EEEvPT_PKS1_iii
	.p2align	8
	.type	_ZN5aiter50hadamard_rotate_activation_fp4quant_inplace_kernelItLi1024ELb1ELi32EEEvPT_PKS1_iii,@function
_ZN5aiter50hadamard_rotate_activation_fp4quant_inplace_kernelItLi1024ELb1ELi32EEEvPT_PKS1_iii: ; @_ZN5aiter50hadamard_rotate_activation_fp4quant_inplace_kernelItLi1024ELb1ELi32EEEvPT_PKS1_iii
; %bb.0:
	s_load_dwordx2 s[2:3], s[4:5], 0x10
	s_load_dwordx2 s[8:9], s[4:5], 0x0
	s_lshl_b32 s6, s6, 1
	s_mov_b32 s1, 0
	v_lshlrev_b32_e32 v4, 6, v0
	s_waitcnt lgkmcnt(0)
	s_sub_i32 s0, s2, s6
	s_lshl_b32 s7, s0, 11
	s_mul_i32 s0, s6, s3
	s_lshl_b64 s[4:5], s[0:1], 1
	s_add_u32 s4, s8, s4
	s_addc_u32 s0, s9, s5
	s_cmp_lt_u32 s2, s6
	s_cselect_b32 s6, s7, 0x1000
	s_and_b32 s5, s0, 0xffff
	s_mov_b32 s0, s1
	s_mov_b32 s2, s1
	;; [unrolled: 1-line block ×3, first 2 shown]
	v_pk_mov_b32 v[0:1], s[0:1], s[0:1] op_sel:[0,1]
	s_mov_b32 s7, 0x20000
	v_pk_mov_b32 v[2:3], s[2:3], s[2:3] op_sel:[0,1]
	buffer_store_dwordx4 v[0:3], v4, s[4:7], 0 offen
	buffer_store_dwordx4 v[0:3], v4, s[4:7], 16 offen
	;; [unrolled: 1-line block ×4, first 2 shown]
	s_endpgm
	.section	.rodata,"a",@progbits
	.p2align	6, 0x0
	.amdhsa_kernel _ZN5aiter50hadamard_rotate_activation_fp4quant_inplace_kernelItLi1024ELb1ELi32EEEvPT_PKS1_iii
		.amdhsa_group_segment_fixed_size 0
		.amdhsa_private_segment_fixed_size 0
		.amdhsa_kernarg_size 28
		.amdhsa_user_sgpr_count 6
		.amdhsa_user_sgpr_private_segment_buffer 1
		.amdhsa_user_sgpr_dispatch_ptr 0
		.amdhsa_user_sgpr_queue_ptr 0
		.amdhsa_user_sgpr_kernarg_segment_ptr 1
		.amdhsa_user_sgpr_dispatch_id 0
		.amdhsa_user_sgpr_flat_scratch_init 0
		.amdhsa_user_sgpr_kernarg_preload_length 0
		.amdhsa_user_sgpr_kernarg_preload_offset 0
		.amdhsa_user_sgpr_private_segment_size 0
		.amdhsa_uses_dynamic_stack 0
		.amdhsa_system_sgpr_private_segment_wavefront_offset 0
		.amdhsa_system_sgpr_workgroup_id_x 1
		.amdhsa_system_sgpr_workgroup_id_y 0
		.amdhsa_system_sgpr_workgroup_id_z 0
		.amdhsa_system_sgpr_workgroup_info 0
		.amdhsa_system_vgpr_workitem_id 0
		.amdhsa_next_free_vgpr 5
		.amdhsa_next_free_sgpr 10
		.amdhsa_accum_offset 8
		.amdhsa_reserve_vcc 0
		.amdhsa_reserve_flat_scratch 0
		.amdhsa_float_round_mode_32 0
		.amdhsa_float_round_mode_16_64 0
		.amdhsa_float_denorm_mode_32 3
		.amdhsa_float_denorm_mode_16_64 3
		.amdhsa_dx10_clamp 1
		.amdhsa_ieee_mode 1
		.amdhsa_fp16_overflow 0
		.amdhsa_tg_split 0
		.amdhsa_exception_fp_ieee_invalid_op 0
		.amdhsa_exception_fp_denorm_src 0
		.amdhsa_exception_fp_ieee_div_zero 0
		.amdhsa_exception_fp_ieee_overflow 0
		.amdhsa_exception_fp_ieee_underflow 0
		.amdhsa_exception_fp_ieee_inexact 0
		.amdhsa_exception_int_div_zero 0
	.end_amdhsa_kernel
	.section	.text._ZN5aiter50hadamard_rotate_activation_fp4quant_inplace_kernelItLi1024ELb1ELi32EEEvPT_PKS1_iii,"axG",@progbits,_ZN5aiter50hadamard_rotate_activation_fp4quant_inplace_kernelItLi1024ELb1ELi32EEEvPT_PKS1_iii,comdat
.Lfunc_end8:
	.size	_ZN5aiter50hadamard_rotate_activation_fp4quant_inplace_kernelItLi1024ELb1ELi32EEEvPT_PKS1_iii, .Lfunc_end8-_ZN5aiter50hadamard_rotate_activation_fp4quant_inplace_kernelItLi1024ELb1ELi32EEEvPT_PKS1_iii
                                        ; -- End function
	.section	.AMDGPU.csdata,"",@progbits
; Kernel info:
; codeLenInByte = 148
; NumSgprs: 14
; NumVgprs: 5
; NumAgprs: 0
; TotalNumVgprs: 5
; ScratchSize: 0
; MemoryBound: 0
; FloatMode: 240
; IeeeMode: 1
; LDSByteSize: 0 bytes/workgroup (compile time only)
; SGPRBlocks: 1
; VGPRBlocks: 0
; NumSGPRsForWavesPerEU: 14
; NumVGPRsForWavesPerEU: 5
; AccumOffset: 8
; Occupancy: 8
; WaveLimiterHint : 0
; COMPUTE_PGM_RSRC2:SCRATCH_EN: 0
; COMPUTE_PGM_RSRC2:USER_SGPR: 6
; COMPUTE_PGM_RSRC2:TRAP_HANDLER: 0
; COMPUTE_PGM_RSRC2:TGID_X_EN: 1
; COMPUTE_PGM_RSRC2:TGID_Y_EN: 0
; COMPUTE_PGM_RSRC2:TGID_Z_EN: 0
; COMPUTE_PGM_RSRC2:TIDIG_COMP_CNT: 0
; COMPUTE_PGM_RSRC3_GFX90A:ACCUM_OFFSET: 1
; COMPUTE_PGM_RSRC3_GFX90A:TG_SPLIT: 0
	.section	.text._ZN5aiter50hadamard_rotate_activation_fp4quant_inplace_kernelIDF16_Li128ELb0ELi16EEEvPT_PKS1_iii,"axG",@progbits,_ZN5aiter50hadamard_rotate_activation_fp4quant_inplace_kernelIDF16_Li128ELb0ELi16EEEvPT_PKS1_iii,comdat
	.protected	_ZN5aiter50hadamard_rotate_activation_fp4quant_inplace_kernelIDF16_Li128ELb0ELi16EEEvPT_PKS1_iii ; -- Begin function _ZN5aiter50hadamard_rotate_activation_fp4quant_inplace_kernelIDF16_Li128ELb0ELi16EEEvPT_PKS1_iii
	.globl	_ZN5aiter50hadamard_rotate_activation_fp4quant_inplace_kernelIDF16_Li128ELb0ELi16EEEvPT_PKS1_iii
	.p2align	8
	.type	_ZN5aiter50hadamard_rotate_activation_fp4quant_inplace_kernelIDF16_Li128ELb0ELi16EEEvPT_PKS1_iii,@function
_ZN5aiter50hadamard_rotate_activation_fp4quant_inplace_kernelIDF16_Li128ELb0ELi16EEEvPT_PKS1_iii: ; @_ZN5aiter50hadamard_rotate_activation_fp4quant_inplace_kernelIDF16_Li128ELb0ELi16EEEvPT_PKS1_iii
; %bb.0:
	s_load_dwordx2 s[0:1], s[4:5], 0x10
	s_load_dwordx4 s[8:11], s[4:5], 0x0
	s_lshl_b32 s2, s6, 3
	v_lshlrev_b32_e32 v1, 5, v0
	s_waitcnt lgkmcnt(0)
	s_sub_i32 s3, s0, s2
	s_cmp_lt_u32 s0, s2
	s_cselect_b32 s6, s3, 8
	s_mul_i32 s2, s2, s1
	s_mov_b32 s3, 0
	s_lshl_b64 s[4:5], s[2:3], 1
	s_add_u32 s0, s10, s4
	s_addc_u32 s3, s11, s5
	s_mul_i32 s1, s1, s6
	s_lshl_b32 s2, s1, 1
	s_and_b32 s1, s3, 0xffff
	s_mov_b32 s3, 0x20000
	buffer_load_dwordx4 v[2:5], v1, s[0:3], 0 offen
	buffer_load_dwordx4 v[6:9], v1, s[0:3], 16 offen
	s_add_u32 s0, s8, s4
	s_mov_b32 s4, 0x3db504f3
	s_addc_u32 s1, s9, s5
	s_lshl_b32 s2, s6, 8
	s_and_b32 s1, s1, 0xffff
	s_waitcnt vmcnt(1)
	v_cvt_f32_f16_e32 v11, v3
	v_cvt_f32_f16_sdwa v10, v2 dst_sel:DWORD dst_unused:UNUSED_PAD src0_sel:WORD_1
	v_cvt_f32_f16_e32 v2, v2
	v_cvt_f32_f16_sdwa v3, v3 dst_sel:DWORD dst_unused:UNUSED_PAD src0_sel:WORD_1
	v_cvt_f32_f16_e32 v13, v5
	v_cvt_f32_f16_sdwa v12, v4 dst_sel:DWORD dst_unused:UNUSED_PAD src0_sel:WORD_1
	v_cvt_f32_f16_e32 v4, v4
	v_cvt_f32_f16_sdwa v5, v5 dst_sel:DWORD dst_unused:UNUSED_PAD src0_sel:WORD_1
	s_waitcnt vmcnt(0)
	v_cvt_f32_f16_e32 v15, v7
	v_cvt_f32_f16_sdwa v14, v6 dst_sel:DWORD dst_unused:UNUSED_PAD src0_sel:WORD_1
	v_cvt_f32_f16_e32 v6, v6
	v_cvt_f32_f16_sdwa v7, v7 dst_sel:DWORD dst_unused:UNUSED_PAD src0_sel:WORD_1
	;; [unrolled: 2-line block ×4, first 2 shown]
	v_mov_b32_e32 v18, v11
	v_mov_b32_e32 v19, v2
	v_mov_b32_e32 v20, v3
	v_mov_b32_e32 v21, v10
	v_pk_add_f32 v[22:23], v[10:11], v[2:3]
	v_pk_add_f32 v[2:3], v[10:11], v[2:3] neg_lo:[0,1] neg_hi:[0,1]
	v_mov_b32_e32 v10, v13
	v_mov_b32_e32 v11, v4
	v_mov_b32_e32 v24, v5
	v_mov_b32_e32 v25, v12
	v_pk_add_f32 v[26:27], v[12:13], v[4:5]
	v_pk_add_f32 v[4:5], v[12:13], v[4:5] neg_lo:[0,1] neg_hi:[0,1]
	;; [unrolled: 6-line block ×4, first 2 shown]
	v_pk_add_f32 v[16:17], v[18:19], v[20:21]
	v_pk_add_f32 v[18:19], v[18:19], v[20:21] neg_lo:[0,1] neg_hi:[0,1]
	v_pk_add_f32 v[20:21], v[10:11], v[24:25]
	v_pk_add_f32 v[10:11], v[10:11], v[24:25] neg_lo:[0,1] neg_hi:[0,1]
	;; [unrolled: 2-line block ×4, first 2 shown]
	v_mov_b32_e32 v23, v3
	v_mov_b32_e32 v27, v5
	;; [unrolled: 1-line block ×8, first 2 shown]
	v_pk_add_f32 v[32:33], v[22:23], v[16:17]
	v_pk_add_f32 v[36:37], v[26:27], v[20:21]
	;; [unrolled: 1-line block ×4, first 2 shown]
	v_mov_b32_e32 v23, v19
	v_mov_b32_e32 v17, v3
	;; [unrolled: 1-line block ×8, first 2 shown]
	v_pk_add_f32 v[2:3], v[32:33], v[36:37]
	v_pk_add_f32 v[4:5], v[38:39], v[40:41]
	v_pk_add_f32 v[6:7], v[22:23], v[16:17] neg_lo:[0,1] neg_hi:[0,1]
	v_pk_add_f32 v[8:9], v[26:27], v[20:21] neg_lo:[0,1] neg_hi:[0,1]
	;; [unrolled: 1-line block ×4, first 2 shown]
	v_pk_add_f32 v[18:19], v[2:3], v[4:5]
	v_pk_add_f32 v[2:3], v[2:3], v[4:5] neg_lo:[0,1] neg_hi:[0,1]
	v_pk_add_f32 v[4:5], v[6:7], v[8:9]
	v_pk_add_f32 v[6:7], v[6:7], v[8:9] neg_lo:[0,1] neg_hi:[0,1]
	v_pk_add_f32 v[8:9], v[10:11], v[12:13] neg_lo:[0,1] neg_hi:[0,1]
	v_pk_add_f32 v[20:21], v[10:11], v[12:13]
	v_pk_add_f32 v[10:11], v[6:7], v[8:9]
	v_pk_add_f32 v[6:7], v[6:7], v[8:9] neg_lo:[0,1] neg_hi:[0,1]
	v_and_b32_e32 v8, 1, v0
	v_sub_f32_dpp v9, v18, v18 quad_perm:[1,0,3,2] row_mask:0xf bank_mask:0xf bound_ctrl:1
	v_add_f32_dpp v12, v18, v18 quad_perm:[1,0,3,2] row_mask:0xf bank_mask:0xf bound_ctrl:1
	v_cmp_eq_u32_e32 vcc, 0, v8
	v_pk_add_f32 v[22:23], v[4:5], v[20:21]
	v_cndmask_b32_e32 v8, v9, v12, vcc
	v_sub_f32_dpp v9, v19, v19 quad_perm:[1,0,3,2] row_mask:0xf bank_mask:0xf bound_ctrl:1
	v_add_f32_dpp v12, v19, v19 quad_perm:[1,0,3,2] row_mask:0xf bank_mask:0xf bound_ctrl:1
	v_pk_add_f32 v[14:15], v[32:33], v[36:37] neg_lo:[0,1] neg_hi:[0,1]
	v_pk_add_f32 v[16:17], v[38:39], v[40:41] neg_lo:[0,1] neg_hi:[0,1]
	v_cndmask_b32_e32 v9, v9, v12, vcc
	v_sub_f32_dpp v12, v22, v22 quad_perm:[1,0,3,2] row_mask:0xf bank_mask:0xf bound_ctrl:1
	v_add_f32_dpp v13, v22, v22 quad_perm:[1,0,3,2] row_mask:0xf bank_mask:0xf bound_ctrl:1
	v_pk_add_f32 v[4:5], v[4:5], v[20:21] neg_lo:[0,1] neg_hi:[0,1]
	v_pk_add_f32 v[20:21], v[14:15], v[16:17]
	v_pk_add_f32 v[14:15], v[14:15], v[16:17] neg_lo:[0,1] neg_hi:[0,1]
	v_cndmask_b32_e32 v12, v12, v13, vcc
	v_sub_f32_dpp v13, v23, v23 quad_perm:[1,0,3,2] row_mask:0xf bank_mask:0xf bound_ctrl:1
	v_add_f32_dpp v16, v23, v23 quad_perm:[1,0,3,2] row_mask:0xf bank_mask:0xf bound_ctrl:1
	v_cndmask_b32_e32 v13, v13, v16, vcc
	v_add_f32_dpp v17, v20, v20 quad_perm:[1,0,3,2] row_mask:0xf bank_mask:0xf bound_ctrl:1
	v_sub_f32_dpp v16, v20, v20 quad_perm:[1,0,3,2] row_mask:0xf bank_mask:0xf bound_ctrl:1
	v_cndmask_b32_e32 v16, v16, v17, vcc
	v_sub_f32_dpp v17, v21, v21 quad_perm:[1,0,3,2] row_mask:0xf bank_mask:0xf bound_ctrl:1
	v_add_f32_dpp v18, v21, v21 quad_perm:[1,0,3,2] row_mask:0xf bank_mask:0xf bound_ctrl:1
	v_cndmask_b32_e32 v17, v17, v18, vcc
	v_sub_f32_dpp v19, v8, v8 quad_perm:[2,3,0,1] row_mask:0xf bank_mask:0xf bound_ctrl:1
	v_sub_f32_dpp v18, v10, v10 quad_perm:[1,0,3,2] row_mask:0xf bank_mask:0xf bound_ctrl:1
	v_add_f32_dpp v10, v10, v10 quad_perm:[1,0,3,2] row_mask:0xf bank_mask:0xf bound_ctrl:1
	v_cndmask_b32_e32 v10, v18, v10, vcc
	v_sub_f32_dpp v18, v11, v11 quad_perm:[1,0,3,2] row_mask:0xf bank_mask:0xf bound_ctrl:1
	v_add_f32_dpp v11, v11, v11 quad_perm:[1,0,3,2] row_mask:0xf bank_mask:0xf bound_ctrl:1
	v_cndmask_b32_e32 v11, v18, v11, vcc
	;; [unrolled: 3-line block ×10, first 2 shown]
	v_and_b32_e32 v18, 2, v0
	v_cmp_eq_u32_e32 vcc, 0, v18
	v_add_f32_dpp v8, v8, v8 quad_perm:[2,3,0,1] row_mask:0xf bank_mask:0xf bound_ctrl:1
	v_sub_f32_dpp v18, v9, v9 quad_perm:[2,3,0,1] row_mask:0xf bank_mask:0xf bound_ctrl:1
	v_add_f32_dpp v9, v9, v9 quad_perm:[2,3,0,1] row_mask:0xf bank_mask:0xf bound_ctrl:1
	v_cndmask_b32_e32 v9, v18, v9, vcc
	v_sub_f32_dpp v18, v12, v12 quad_perm:[2,3,0,1] row_mask:0xf bank_mask:0xf bound_ctrl:1
	v_add_f32_dpp v12, v12, v12 quad_perm:[2,3,0,1] row_mask:0xf bank_mask:0xf bound_ctrl:1
	v_cndmask_b32_e32 v12, v18, v12, vcc
	;; [unrolled: 3-line block ×8, first 2 shown]
	v_cndmask_b32_e32 v8, v19, v8, vcc
	v_sub_f32_dpp v2, v3, v3 quad_perm:[2,3,0,1] row_mask:0xf bank_mask:0xf bound_ctrl:1
	v_add_f32_dpp v3, v3, v3 quad_perm:[2,3,0,1] row_mask:0xf bank_mask:0xf bound_ctrl:1
	v_cndmask_b32_e32 v19, v2, v3, vcc
	v_sub_f32_dpp v2, v4, v4 quad_perm:[2,3,0,1] row_mask:0xf bank_mask:0xf bound_ctrl:1
	v_add_f32_dpp v3, v4, v4 quad_perm:[2,3,0,1] row_mask:0xf bank_mask:0xf bound_ctrl:1
	;; [unrolled: 3-line block ×7, first 2 shown]
	v_cndmask_b32_e32 v23, v2, v3, vcc
	v_mov_b32_dpp v2, v8 row_shl:4 row_mask:0xf bank_mask:0x5 bound_ctrl:1
	v_and_b32_e32 v0, 4, v0
	v_cmp_eq_u32_e32 vcc, 0, v0
	v_mov_b32_dpp v2, v8 row_shr:4 row_mask:0xf bank_mask:0xa bound_ctrl:1
	v_sub_f32_e32 v3, v2, v8
	v_add_f32_e32 v2, v8, v2
	v_cndmask_b32_e32 v0, v3, v2, vcc
	v_fma_mixlo_f16 v0, v0, s4, 0
	v_mov_b32_dpp v2, v9 row_shl:4 row_mask:0xf bank_mask:0x5 bound_ctrl:1
	s_nop 1
	v_mov_b32_dpp v2, v9 row_shr:4 row_mask:0xf bank_mask:0xa bound_ctrl:1
	v_sub_f32_e32 v3, v2, v9
	v_add_f32_e32 v2, v9, v2
	v_cndmask_b32_e32 v2, v3, v2, vcc
	v_mov_b32_dpp v3, v12 row_shl:4 row_mask:0xf bank_mask:0x5 bound_ctrl:1
	s_nop 1
	v_mov_b32_dpp v3, v12 row_shr:4 row_mask:0xf bank_mask:0xa bound_ctrl:1
	v_sub_f32_e32 v4, v3, v12
	v_add_f32_e32 v3, v12, v3
	v_cndmask_b32_e32 v3, v4, v3, vcc
	v_mov_b32_dpp v4, v13 row_shl:4 row_mask:0xf bank_mask:0x5 bound_ctrl:1
	v_pk_mul_f32 v[2:3], v[2:3], s[4:5] op_sel_hi:[1,0]
	v_cvt_f16_f32_e32 v3, v3
	v_mov_b32_dpp v4, v13 row_shr:4 row_mask:0xf bank_mask:0xa bound_ctrl:1
	v_sub_f32_e32 v5, v4, v13
	v_add_f32_e32 v4, v13, v4
	v_cndmask_b32_e32 v4, v5, v4, vcc
	v_mov_b32_dpp v5, v16 row_shl:4 row_mask:0xf bank_mask:0x5 bound_ctrl:1
	v_cvt_f16_f32_e32 v2, v2
	v_pack_b32_f16 v2, v0, v2
	v_mov_b32_dpp v5, v16 row_shr:4 row_mask:0xf bank_mask:0xa bound_ctrl:1
	v_sub_f32_e32 v6, v5, v16
	v_add_f32_e32 v5, v16, v5
	v_cndmask_b32_e32 v5, v6, v5, vcc
	v_mov_b32_dpp v6, v17 row_shl:4 row_mask:0xf bank_mask:0x5 bound_ctrl:1
	v_pk_mul_f32 v[4:5], v[4:5], s[4:5] op_sel_hi:[1,0]
	s_nop 0
	v_mov_b32_dpp v6, v17 row_shr:4 row_mask:0xf bank_mask:0xa bound_ctrl:1
	v_sub_f32_e32 v7, v6, v17
	v_add_f32_e32 v6, v17, v6
	v_cndmask_b32_e32 v6, v7, v6, vcc
	v_mov_b32_dpp v7, v10 row_shl:4 row_mask:0xf bank_mask:0x5 bound_ctrl:1
	s_nop 1
	v_mov_b32_dpp v7, v10 row_shr:4 row_mask:0xf bank_mask:0xa bound_ctrl:1
	v_sub_f32_e32 v8, v7, v10
	v_add_f32_e32 v7, v10, v7
	v_cndmask_b32_e32 v7, v8, v7, vcc
	v_mov_b32_dpp v8, v11 row_shl:4 row_mask:0xf bank_mask:0x5 bound_ctrl:1
	v_pk_mul_f32 v[6:7], v[6:7], s[4:5] op_sel_hi:[1,0]
	v_cvt_f16_f32_e32 v6, v6
	v_mov_b32_dpp v8, v11 row_shr:4 row_mask:0xf bank_mask:0xa bound_ctrl:1
	v_sub_f32_e32 v9, v8, v11
	v_add_f32_e32 v8, v11, v8
	v_cndmask_b32_e32 v16, v9, v8, vcc
	s_nop 0
	v_mov_b32_dpp v8, v18 row_shl:4 row_mask:0xf bank_mask:0x5 bound_ctrl:1
	s_nop 1
	v_mov_b32_dpp v8, v18 row_shr:4 row_mask:0xf bank_mask:0xa bound_ctrl:1
	v_sub_f32_e32 v9, v8, v18
	v_add_f32_e32 v8, v18, v8
	v_cndmask_b32_e32 v17, v9, v8, vcc
	v_cvt_f16_f32_e32 v18, v4
	v_mov_b32_dpp v8, v19 row_shl:4 row_mask:0xf bank_mask:0x5 bound_ctrl:1
	v_fma_mixlo_f16 v0, v17, s4, 0
	v_pack_b32_f16 v3, v3, v18
	v_mov_b32_dpp v8, v19 row_shr:4 row_mask:0xf bank_mask:0xa bound_ctrl:1
	v_sub_f32_e32 v9, v8, v19
	v_add_f32_e32 v8, v19, v8
	v_cndmask_b32_e32 v8, v9, v8, vcc
	v_mov_b32_dpp v9, v20 row_shl:4 row_mask:0xf bank_mask:0x5 bound_ctrl:1
	s_nop 1
	v_mov_b32_dpp v9, v20 row_shr:4 row_mask:0xf bank_mask:0xa bound_ctrl:1
	v_sub_f32_e32 v10, v9, v20
	v_add_f32_e32 v9, v20, v9
	v_cndmask_b32_e32 v9, v10, v9, vcc
	v_mov_b32_dpp v10, v21 row_shl:4 row_mask:0xf bank_mask:0x5 bound_ctrl:1
	s_nop 1
	v_mov_b32_dpp v10, v21 row_shr:4 row_mask:0xf bank_mask:0xa bound_ctrl:1
	v_sub_f32_e32 v11, v10, v21
	v_add_f32_e32 v10, v21, v10
	v_cndmask_b32_e32 v10, v11, v10, vcc
	v_mov_b32_dpp v11, v14 row_shl:4 row_mask:0xf bank_mask:0x5 bound_ctrl:1
	s_nop 1
	v_mov_b32_dpp v11, v14 row_shr:4 row_mask:0xf bank_mask:0xa bound_ctrl:1
	v_sub_f32_e32 v12, v11, v14
	v_add_f32_e32 v11, v14, v11
	v_cndmask_b32_e32 v11, v12, v11, vcc
	v_mov_b32_dpp v12, v15 row_shl:4 row_mask:0xf bank_mask:0x5 bound_ctrl:1
	s_nop 1
	v_mov_b32_dpp v12, v15 row_shr:4 row_mask:0xf bank_mask:0xa bound_ctrl:1
	v_sub_f32_e32 v13, v12, v15
	v_add_f32_e32 v12, v15, v12
	v_cndmask_b32_e32 v12, v13, v12, vcc
	v_mov_b32_dpp v13, v22 row_shl:4 row_mask:0xf bank_mask:0x5 bound_ctrl:1
	s_nop 1
	v_mov_b32_dpp v13, v22 row_shr:4 row_mask:0xf bank_mask:0xa bound_ctrl:1
	v_sub_f32_e32 v14, v13, v22
	v_add_f32_e32 v13, v22, v13
	v_cndmask_b32_e32 v13, v14, v13, vcc
	v_mov_b32_dpp v14, v23 row_shl:4 row_mask:0xf bank_mask:0x5 bound_ctrl:1
	s_nop 1
	v_mov_b32_dpp v14, v23 row_shr:4 row_mask:0xf bank_mask:0xa bound_ctrl:1
	v_sub_f32_e32 v15, v14, v23
	v_add_f32_e32 v14, v23, v14
	v_cndmask_b32_e32 v14, v15, v14, vcc
	v_cvt_f16_f32_e32 v15, v5
	v_cvt_f16_f32_e32 v5, v7
	v_pack_b32_f16 v4, v15, v6
	v_fma_mixhi_f16 v5, v16, s4, 0
	buffer_store_dwordx4 v[2:5], v1, s[0:3], 0 offen
	v_pk_mul_f32 v[6:7], v[12:13], s[4:5] op_sel_hi:[1,0]
	v_pk_mul_f32 v[2:3], v[8:9], s[4:5] op_sel_hi:[1,0]
	;; [unrolled: 1-line block ×3, first 2 shown]
	v_cvt_f16_f32_e32 v3, v3
	v_cvt_f16_f32_e32 v8, v5
	;; [unrolled: 1-line block ×6, first 2 shown]
	v_pack_b32_f16 v4, v8, v6
	v_pack_b32_f16 v3, v3, v9
	;; [unrolled: 1-line block ×3, first 2 shown]
	v_fma_mixhi_f16 v5, v14, s4, 0
	;;#ASMSTART
	s_nop 0
	;;#ASMEND
	buffer_store_dwordx4 v[2:5], v1, s[0:3], 16 offen
	;;#ASMSTART
	s_nop 0
	;;#ASMEND
	s_endpgm
	.section	.rodata,"a",@progbits
	.p2align	6, 0x0
	.amdhsa_kernel _ZN5aiter50hadamard_rotate_activation_fp4quant_inplace_kernelIDF16_Li128ELb0ELi16EEEvPT_PKS1_iii
		.amdhsa_group_segment_fixed_size 0
		.amdhsa_private_segment_fixed_size 0
		.amdhsa_kernarg_size 28
		.amdhsa_user_sgpr_count 6
		.amdhsa_user_sgpr_private_segment_buffer 1
		.amdhsa_user_sgpr_dispatch_ptr 0
		.amdhsa_user_sgpr_queue_ptr 0
		.amdhsa_user_sgpr_kernarg_segment_ptr 1
		.amdhsa_user_sgpr_dispatch_id 0
		.amdhsa_user_sgpr_flat_scratch_init 0
		.amdhsa_user_sgpr_kernarg_preload_length 0
		.amdhsa_user_sgpr_kernarg_preload_offset 0
		.amdhsa_user_sgpr_private_segment_size 0
		.amdhsa_uses_dynamic_stack 0
		.amdhsa_system_sgpr_private_segment_wavefront_offset 0
		.amdhsa_system_sgpr_workgroup_id_x 1
		.amdhsa_system_sgpr_workgroup_id_y 0
		.amdhsa_system_sgpr_workgroup_id_z 0
		.amdhsa_system_sgpr_workgroup_info 0
		.amdhsa_system_vgpr_workitem_id 0
		.amdhsa_next_free_vgpr 42
		.amdhsa_next_free_sgpr 12
		.amdhsa_accum_offset 44
		.amdhsa_reserve_vcc 1
		.amdhsa_reserve_flat_scratch 0
		.amdhsa_float_round_mode_32 0
		.amdhsa_float_round_mode_16_64 0
		.amdhsa_float_denorm_mode_32 3
		.amdhsa_float_denorm_mode_16_64 3
		.amdhsa_dx10_clamp 1
		.amdhsa_ieee_mode 1
		.amdhsa_fp16_overflow 0
		.amdhsa_tg_split 0
		.amdhsa_exception_fp_ieee_invalid_op 0
		.amdhsa_exception_fp_denorm_src 0
		.amdhsa_exception_fp_ieee_div_zero 0
		.amdhsa_exception_fp_ieee_overflow 0
		.amdhsa_exception_fp_ieee_underflow 0
		.amdhsa_exception_fp_ieee_inexact 0
		.amdhsa_exception_int_div_zero 0
	.end_amdhsa_kernel
	.section	.text._ZN5aiter50hadamard_rotate_activation_fp4quant_inplace_kernelIDF16_Li128ELb0ELi16EEEvPT_PKS1_iii,"axG",@progbits,_ZN5aiter50hadamard_rotate_activation_fp4quant_inplace_kernelIDF16_Li128ELb0ELi16EEEvPT_PKS1_iii,comdat
.Lfunc_end9:
	.size	_ZN5aiter50hadamard_rotate_activation_fp4quant_inplace_kernelIDF16_Li128ELb0ELi16EEEvPT_PKS1_iii, .Lfunc_end9-_ZN5aiter50hadamard_rotate_activation_fp4quant_inplace_kernelIDF16_Li128ELb0ELi16EEEvPT_PKS1_iii
                                        ; -- End function
	.section	.AMDGPU.csdata,"",@progbits
; Kernel info:
; codeLenInByte = 2052
; NumSgprs: 16
; NumVgprs: 42
; NumAgprs: 0
; TotalNumVgprs: 42
; ScratchSize: 0
; MemoryBound: 0
; FloatMode: 240
; IeeeMode: 1
; LDSByteSize: 0 bytes/workgroup (compile time only)
; SGPRBlocks: 1
; VGPRBlocks: 5
; NumSGPRsForWavesPerEU: 16
; NumVGPRsForWavesPerEU: 42
; AccumOffset: 44
; Occupancy: 8
; WaveLimiterHint : 0
; COMPUTE_PGM_RSRC2:SCRATCH_EN: 0
; COMPUTE_PGM_RSRC2:USER_SGPR: 6
; COMPUTE_PGM_RSRC2:TRAP_HANDLER: 0
; COMPUTE_PGM_RSRC2:TGID_X_EN: 1
; COMPUTE_PGM_RSRC2:TGID_Y_EN: 0
; COMPUTE_PGM_RSRC2:TGID_Z_EN: 0
; COMPUTE_PGM_RSRC2:TIDIG_COMP_CNT: 0
; COMPUTE_PGM_RSRC3_GFX90A:ACCUM_OFFSET: 10
; COMPUTE_PGM_RSRC3_GFX90A:TG_SPLIT: 0
	.section	.text._ZN5aiter50hadamard_rotate_activation_fp4quant_inplace_kernelItLi128ELb0ELi16EEEvPT_PKS1_iii,"axG",@progbits,_ZN5aiter50hadamard_rotate_activation_fp4quant_inplace_kernelItLi128ELb0ELi16EEEvPT_PKS1_iii,comdat
	.protected	_ZN5aiter50hadamard_rotate_activation_fp4quant_inplace_kernelItLi128ELb0ELi16EEEvPT_PKS1_iii ; -- Begin function _ZN5aiter50hadamard_rotate_activation_fp4quant_inplace_kernelItLi128ELb0ELi16EEEvPT_PKS1_iii
	.globl	_ZN5aiter50hadamard_rotate_activation_fp4quant_inplace_kernelItLi128ELb0ELi16EEEvPT_PKS1_iii
	.p2align	8
	.type	_ZN5aiter50hadamard_rotate_activation_fp4quant_inplace_kernelItLi128ELb0ELi16EEEvPT_PKS1_iii,@function
_ZN5aiter50hadamard_rotate_activation_fp4quant_inplace_kernelItLi128ELb0ELi16EEEvPT_PKS1_iii: ; @_ZN5aiter50hadamard_rotate_activation_fp4quant_inplace_kernelItLi128ELb0ELi16EEEvPT_PKS1_iii
; %bb.0:
	s_load_dwordx2 s[0:1], s[4:5], 0x10
	s_load_dwordx4 s[8:11], s[4:5], 0x0
	s_lshl_b32 s2, s6, 3
	v_lshlrev_b32_e32 v1, 5, v0
	s_waitcnt lgkmcnt(0)
	s_sub_i32 s3, s0, s2
	s_cmp_lt_u32 s0, s2
	s_cselect_b32 s6, s3, 8
	s_mul_i32 s2, s2, s1
	s_mov_b32 s3, 0
	s_lshl_b64 s[4:5], s[2:3], 1
	s_add_u32 s0, s10, s4
	s_addc_u32 s3, s11, s5
	s_mul_i32 s1, s1, s6
	s_lshl_b32 s2, s1, 1
	s_and_b32 s1, s3, 0xffff
	s_mov_b32 s3, 0x20000
	buffer_load_dwordx4 v[2:5], v1, s[0:3], 0 offen
	buffer_load_dwordx4 v[6:9], v1, s[0:3], 16 offen
	s_add_u32 s0, s8, s4
	s_mov_b32 s4, 0x3db504f3
	s_addc_u32 s1, s9, s5
	s_lshl_b32 s2, s6, 8
	s_and_b32 s1, s1, 0xffff
	s_waitcnt vmcnt(1)
	v_cvt_f32_u32_sdwa v11, v3 dst_sel:DWORD dst_unused:UNUSED_PAD src0_sel:WORD_0
	v_cvt_f32_u32_sdwa v10, v2 dst_sel:DWORD dst_unused:UNUSED_PAD src0_sel:WORD_1
	v_cvt_f32_u32_sdwa v3, v3 dst_sel:DWORD dst_unused:UNUSED_PAD src0_sel:WORD_1
	v_cvt_f32_u32_sdwa v2, v2 dst_sel:DWORD dst_unused:UNUSED_PAD src0_sel:WORD_0
	v_cvt_f32_u32_sdwa v13, v5 dst_sel:DWORD dst_unused:UNUSED_PAD src0_sel:WORD_0
	v_cvt_f32_u32_sdwa v12, v4 dst_sel:DWORD dst_unused:UNUSED_PAD src0_sel:WORD_1
	v_cvt_f32_u32_sdwa v5, v5 dst_sel:DWORD dst_unused:UNUSED_PAD src0_sel:WORD_1
	v_cvt_f32_u32_sdwa v4, v4 dst_sel:DWORD dst_unused:UNUSED_PAD src0_sel:WORD_0
	s_waitcnt vmcnt(0)
	v_cvt_f32_u32_sdwa v15, v7 dst_sel:DWORD dst_unused:UNUSED_PAD src0_sel:WORD_0
	v_cvt_f32_u32_sdwa v14, v6 dst_sel:DWORD dst_unused:UNUSED_PAD src0_sel:WORD_1
	v_cvt_f32_u32_sdwa v7, v7 dst_sel:DWORD dst_unused:UNUSED_PAD src0_sel:WORD_1
	v_cvt_f32_u32_sdwa v6, v6 dst_sel:DWORD dst_unused:UNUSED_PAD src0_sel:WORD_0
	v_cvt_f32_u32_sdwa v17, v9 dst_sel:DWORD dst_unused:UNUSED_PAD src0_sel:WORD_0
	v_cvt_f32_u32_sdwa v16, v8 dst_sel:DWORD dst_unused:UNUSED_PAD src0_sel:WORD_1
	v_cvt_f32_u32_sdwa v9, v9 dst_sel:DWORD dst_unused:UNUSED_PAD src0_sel:WORD_1
	v_cvt_f32_u32_sdwa v8, v8 dst_sel:DWORD dst_unused:UNUSED_PAD src0_sel:WORD_0
	v_mov_b32_e32 v18, v11
	v_mov_b32_e32 v19, v2
	v_mov_b32_e32 v20, v3
	v_mov_b32_e32 v21, v10
	v_pk_add_f32 v[22:23], v[10:11], v[2:3]
	v_pk_add_f32 v[2:3], v[10:11], v[2:3] neg_lo:[0,1] neg_hi:[0,1]
	v_mov_b32_e32 v10, v13
	v_mov_b32_e32 v11, v4
	v_mov_b32_e32 v24, v5
	v_mov_b32_e32 v25, v12
	v_pk_add_f32 v[26:27], v[12:13], v[4:5]
	v_pk_add_f32 v[4:5], v[12:13], v[4:5] neg_lo:[0,1] neg_hi:[0,1]
	;; [unrolled: 6-line block ×4, first 2 shown]
	v_pk_add_f32 v[16:17], v[18:19], v[20:21]
	v_pk_add_f32 v[18:19], v[18:19], v[20:21] neg_lo:[0,1] neg_hi:[0,1]
	v_pk_add_f32 v[20:21], v[10:11], v[24:25]
	v_pk_add_f32 v[10:11], v[10:11], v[24:25] neg_lo:[0,1] neg_hi:[0,1]
	;; [unrolled: 2-line block ×4, first 2 shown]
	v_mov_b32_e32 v23, v3
	v_mov_b32_e32 v27, v5
	v_mov_b32_e32 v31, v7
	v_mov_b32_e32 v35, v9
	v_mov_b32_e32 v17, v19
	v_mov_b32_e32 v21, v11
	v_mov_b32_e32 v25, v13
	v_mov_b32_e32 v29, v15
	v_pk_add_f32 v[32:33], v[22:23], v[16:17]
	v_pk_add_f32 v[36:37], v[26:27], v[20:21]
	;; [unrolled: 1-line block ×4, first 2 shown]
	v_mov_b32_e32 v23, v19
	v_mov_b32_e32 v17, v3
	;; [unrolled: 1-line block ×8, first 2 shown]
	v_pk_add_f32 v[2:3], v[32:33], v[36:37]
	v_pk_add_f32 v[4:5], v[38:39], v[40:41]
	v_pk_add_f32 v[6:7], v[22:23], v[16:17] neg_lo:[0,1] neg_hi:[0,1]
	v_pk_add_f32 v[8:9], v[26:27], v[20:21] neg_lo:[0,1] neg_hi:[0,1]
	;; [unrolled: 1-line block ×4, first 2 shown]
	v_pk_add_f32 v[18:19], v[2:3], v[4:5]
	v_pk_add_f32 v[2:3], v[2:3], v[4:5] neg_lo:[0,1] neg_hi:[0,1]
	v_pk_add_f32 v[4:5], v[6:7], v[8:9]
	v_pk_add_f32 v[6:7], v[6:7], v[8:9] neg_lo:[0,1] neg_hi:[0,1]
	v_pk_add_f32 v[8:9], v[10:11], v[12:13] neg_lo:[0,1] neg_hi:[0,1]
	v_pk_add_f32 v[20:21], v[10:11], v[12:13]
	v_pk_add_f32 v[10:11], v[6:7], v[8:9]
	v_pk_add_f32 v[6:7], v[6:7], v[8:9] neg_lo:[0,1] neg_hi:[0,1]
	v_and_b32_e32 v8, 1, v0
	v_sub_f32_dpp v9, v18, v18 quad_perm:[1,0,3,2] row_mask:0xf bank_mask:0xf bound_ctrl:1
	v_add_f32_dpp v12, v18, v18 quad_perm:[1,0,3,2] row_mask:0xf bank_mask:0xf bound_ctrl:1
	v_cmp_eq_u32_e32 vcc, 0, v8
	v_pk_add_f32 v[22:23], v[4:5], v[20:21]
	v_cndmask_b32_e32 v8, v9, v12, vcc
	v_sub_f32_dpp v9, v19, v19 quad_perm:[1,0,3,2] row_mask:0xf bank_mask:0xf bound_ctrl:1
	v_add_f32_dpp v12, v19, v19 quad_perm:[1,0,3,2] row_mask:0xf bank_mask:0xf bound_ctrl:1
	v_pk_add_f32 v[14:15], v[32:33], v[36:37] neg_lo:[0,1] neg_hi:[0,1]
	v_pk_add_f32 v[16:17], v[38:39], v[40:41] neg_lo:[0,1] neg_hi:[0,1]
	v_cndmask_b32_e32 v9, v9, v12, vcc
	v_sub_f32_dpp v12, v22, v22 quad_perm:[1,0,3,2] row_mask:0xf bank_mask:0xf bound_ctrl:1
	v_add_f32_dpp v13, v22, v22 quad_perm:[1,0,3,2] row_mask:0xf bank_mask:0xf bound_ctrl:1
	v_pk_add_f32 v[4:5], v[4:5], v[20:21] neg_lo:[0,1] neg_hi:[0,1]
	v_pk_add_f32 v[20:21], v[14:15], v[16:17]
	v_pk_add_f32 v[14:15], v[14:15], v[16:17] neg_lo:[0,1] neg_hi:[0,1]
	v_cndmask_b32_e32 v12, v12, v13, vcc
	v_sub_f32_dpp v13, v23, v23 quad_perm:[1,0,3,2] row_mask:0xf bank_mask:0xf bound_ctrl:1
	v_add_f32_dpp v16, v23, v23 quad_perm:[1,0,3,2] row_mask:0xf bank_mask:0xf bound_ctrl:1
	v_cndmask_b32_e32 v13, v13, v16, vcc
	v_add_f32_dpp v17, v20, v20 quad_perm:[1,0,3,2] row_mask:0xf bank_mask:0xf bound_ctrl:1
	v_sub_f32_dpp v16, v20, v20 quad_perm:[1,0,3,2] row_mask:0xf bank_mask:0xf bound_ctrl:1
	v_cndmask_b32_e32 v16, v16, v17, vcc
	v_sub_f32_dpp v17, v21, v21 quad_perm:[1,0,3,2] row_mask:0xf bank_mask:0xf bound_ctrl:1
	v_add_f32_dpp v18, v21, v21 quad_perm:[1,0,3,2] row_mask:0xf bank_mask:0xf bound_ctrl:1
	v_cndmask_b32_e32 v17, v17, v18, vcc
	v_sub_f32_dpp v19, v8, v8 quad_perm:[2,3,0,1] row_mask:0xf bank_mask:0xf bound_ctrl:1
	v_sub_f32_dpp v18, v10, v10 quad_perm:[1,0,3,2] row_mask:0xf bank_mask:0xf bound_ctrl:1
	v_add_f32_dpp v10, v10, v10 quad_perm:[1,0,3,2] row_mask:0xf bank_mask:0xf bound_ctrl:1
	v_cndmask_b32_e32 v10, v18, v10, vcc
	v_sub_f32_dpp v18, v11, v11 quad_perm:[1,0,3,2] row_mask:0xf bank_mask:0xf bound_ctrl:1
	v_add_f32_dpp v11, v11, v11 quad_perm:[1,0,3,2] row_mask:0xf bank_mask:0xf bound_ctrl:1
	v_cndmask_b32_e32 v11, v18, v11, vcc
	v_sub_f32_dpp v18, v2, v2 quad_perm:[1,0,3,2] row_mask:0xf bank_mask:0xf bound_ctrl:1
	v_add_f32_dpp v2, v2, v2 quad_perm:[1,0,3,2] row_mask:0xf bank_mask:0xf bound_ctrl:1
	v_cndmask_b32_e32 v2, v18, v2, vcc
	v_sub_f32_dpp v18, v3, v3 quad_perm:[1,0,3,2] row_mask:0xf bank_mask:0xf bound_ctrl:1
	v_add_f32_dpp v3, v3, v3 quad_perm:[1,0,3,2] row_mask:0xf bank_mask:0xf bound_ctrl:1
	v_cndmask_b32_e32 v3, v18, v3, vcc
	v_sub_f32_dpp v18, v4, v4 quad_perm:[1,0,3,2] row_mask:0xf bank_mask:0xf bound_ctrl:1
	v_add_f32_dpp v4, v4, v4 quad_perm:[1,0,3,2] row_mask:0xf bank_mask:0xf bound_ctrl:1
	v_cndmask_b32_e32 v4, v18, v4, vcc
	v_sub_f32_dpp v18, v5, v5 quad_perm:[1,0,3,2] row_mask:0xf bank_mask:0xf bound_ctrl:1
	v_add_f32_dpp v5, v5, v5 quad_perm:[1,0,3,2] row_mask:0xf bank_mask:0xf bound_ctrl:1
	v_cndmask_b32_e32 v5, v18, v5, vcc
	v_sub_f32_dpp v18, v14, v14 quad_perm:[1,0,3,2] row_mask:0xf bank_mask:0xf bound_ctrl:1
	v_add_f32_dpp v14, v14, v14 quad_perm:[1,0,3,2] row_mask:0xf bank_mask:0xf bound_ctrl:1
	v_cndmask_b32_e32 v14, v18, v14, vcc
	v_sub_f32_dpp v18, v15, v15 quad_perm:[1,0,3,2] row_mask:0xf bank_mask:0xf bound_ctrl:1
	v_add_f32_dpp v15, v15, v15 quad_perm:[1,0,3,2] row_mask:0xf bank_mask:0xf bound_ctrl:1
	v_cndmask_b32_e32 v15, v18, v15, vcc
	v_sub_f32_dpp v18, v6, v6 quad_perm:[1,0,3,2] row_mask:0xf bank_mask:0xf bound_ctrl:1
	v_add_f32_dpp v6, v6, v6 quad_perm:[1,0,3,2] row_mask:0xf bank_mask:0xf bound_ctrl:1
	v_cndmask_b32_e32 v6, v18, v6, vcc
	v_sub_f32_dpp v18, v7, v7 quad_perm:[1,0,3,2] row_mask:0xf bank_mask:0xf bound_ctrl:1
	v_add_f32_dpp v7, v7, v7 quad_perm:[1,0,3,2] row_mask:0xf bank_mask:0xf bound_ctrl:1
	v_cndmask_b32_e32 v7, v18, v7, vcc
	v_and_b32_e32 v18, 2, v0
	v_cmp_eq_u32_e32 vcc, 0, v18
	v_add_f32_dpp v8, v8, v8 quad_perm:[2,3,0,1] row_mask:0xf bank_mask:0xf bound_ctrl:1
	v_sub_f32_dpp v18, v9, v9 quad_perm:[2,3,0,1] row_mask:0xf bank_mask:0xf bound_ctrl:1
	v_add_f32_dpp v9, v9, v9 quad_perm:[2,3,0,1] row_mask:0xf bank_mask:0xf bound_ctrl:1
	v_cndmask_b32_e32 v9, v18, v9, vcc
	v_sub_f32_dpp v18, v12, v12 quad_perm:[2,3,0,1] row_mask:0xf bank_mask:0xf bound_ctrl:1
	v_add_f32_dpp v12, v12, v12 quad_perm:[2,3,0,1] row_mask:0xf bank_mask:0xf bound_ctrl:1
	v_cndmask_b32_e32 v12, v18, v12, vcc
	v_sub_f32_dpp v18, v13, v13 quad_perm:[2,3,0,1] row_mask:0xf bank_mask:0xf bound_ctrl:1
	v_add_f32_dpp v13, v13, v13 quad_perm:[2,3,0,1] row_mask:0xf bank_mask:0xf bound_ctrl:1
	v_cndmask_b32_e32 v13, v18, v13, vcc
	v_sub_f32_dpp v18, v16, v16 quad_perm:[2,3,0,1] row_mask:0xf bank_mask:0xf bound_ctrl:1
	v_add_f32_dpp v16, v16, v16 quad_perm:[2,3,0,1] row_mask:0xf bank_mask:0xf bound_ctrl:1
	v_cndmask_b32_e32 v16, v18, v16, vcc
	v_sub_f32_dpp v18, v17, v17 quad_perm:[2,3,0,1] row_mask:0xf bank_mask:0xf bound_ctrl:1
	v_add_f32_dpp v17, v17, v17 quad_perm:[2,3,0,1] row_mask:0xf bank_mask:0xf bound_ctrl:1
	v_cndmask_b32_e32 v17, v18, v17, vcc
	v_sub_f32_dpp v18, v10, v10 quad_perm:[2,3,0,1] row_mask:0xf bank_mask:0xf bound_ctrl:1
	v_add_f32_dpp v10, v10, v10 quad_perm:[2,3,0,1] row_mask:0xf bank_mask:0xf bound_ctrl:1
	v_cndmask_b32_e32 v10, v18, v10, vcc
	v_sub_f32_dpp v18, v11, v11 quad_perm:[2,3,0,1] row_mask:0xf bank_mask:0xf bound_ctrl:1
	v_add_f32_dpp v11, v11, v11 quad_perm:[2,3,0,1] row_mask:0xf bank_mask:0xf bound_ctrl:1
	v_cndmask_b32_e32 v11, v18, v11, vcc
	v_sub_f32_dpp v18, v2, v2 quad_perm:[2,3,0,1] row_mask:0xf bank_mask:0xf bound_ctrl:1
	v_add_f32_dpp v2, v2, v2 quad_perm:[2,3,0,1] row_mask:0xf bank_mask:0xf bound_ctrl:1
	v_cndmask_b32_e32 v18, v18, v2, vcc
	v_cndmask_b32_e32 v8, v19, v8, vcc
	v_sub_f32_dpp v2, v3, v3 quad_perm:[2,3,0,1] row_mask:0xf bank_mask:0xf bound_ctrl:1
	v_add_f32_dpp v3, v3, v3 quad_perm:[2,3,0,1] row_mask:0xf bank_mask:0xf bound_ctrl:1
	v_cndmask_b32_e32 v19, v2, v3, vcc
	v_sub_f32_dpp v2, v4, v4 quad_perm:[2,3,0,1] row_mask:0xf bank_mask:0xf bound_ctrl:1
	v_add_f32_dpp v3, v4, v4 quad_perm:[2,3,0,1] row_mask:0xf bank_mask:0xf bound_ctrl:1
	;; [unrolled: 3-line block ×7, first 2 shown]
	v_cndmask_b32_e32 v23, v2, v3, vcc
	v_mov_b32_dpp v2, v8 row_shl:4 row_mask:0xf bank_mask:0x5 bound_ctrl:1
	v_and_b32_e32 v0, 4, v0
	v_cmp_eq_u32_e32 vcc, 0, v0
	v_mov_b32_dpp v2, v8 row_shr:4 row_mask:0xf bank_mask:0xa bound_ctrl:1
	v_mov_b32_dpp v0, v9 row_shl:4 row_mask:0xf bank_mask:0x5 bound_ctrl:1
	v_sub_f32_e32 v3, v2, v8
	v_add_f32_e32 v2, v8, v2
	v_mov_b32_dpp v0, v9 row_shr:4 row_mask:0xf bank_mask:0xa bound_ctrl:1
	v_cndmask_b32_e32 v2, v3, v2, vcc
	v_sub_f32_e32 v3, v0, v9
	v_add_f32_e32 v0, v9, v0
	v_cndmask_b32_e32 v3, v3, v0, vcc
	s_nop 0
	v_mov_b32_dpp v0, v12 row_shl:4 row_mask:0xf bank_mask:0x5 bound_ctrl:1
	s_nop 1
	v_mov_b32_dpp v0, v12 row_shr:4 row_mask:0xf bank_mask:0xa bound_ctrl:1
	v_sub_f32_e32 v4, v0, v12
	v_add_f32_e32 v0, v12, v0
	v_cndmask_b32_e32 v4, v4, v0, vcc
	s_nop 0
	v_mov_b32_dpp v0, v13 row_shl:4 row_mask:0xf bank_mask:0x5 bound_ctrl:1
	s_nop 1
	v_mov_b32_dpp v0, v13 row_shr:4 row_mask:0xf bank_mask:0xa bound_ctrl:1
	;; [unrolled: 7-line block ×4, first 2 shown]
	v_sub_f32_e32 v7, v0, v17
	v_add_f32_e32 v0, v17, v0
	v_cndmask_b32_e32 v7, v7, v0, vcc
	v_pk_mul_f32 v[6:7], v[6:7], s[4:5] op_sel_hi:[1,0]
	v_mov_b32_dpp v0, v10 row_shl:4 row_mask:0xf bank_mask:0x5 bound_ctrl:1
	s_nop 1
	v_mov_b32_dpp v0, v10 row_shr:4 row_mask:0xf bank_mask:0xa bound_ctrl:1
	v_sub_f32_e32 v8, v0, v10
	v_add_f32_e32 v0, v10, v0
	v_cndmask_b32_e32 v8, v8, v0, vcc
	s_nop 0
	v_mov_b32_dpp v0, v11 row_shl:4 row_mask:0xf bank_mask:0x5 bound_ctrl:1
	s_nop 1
	v_mov_b32_dpp v0, v11 row_shr:4 row_mask:0xf bank_mask:0xa bound_ctrl:1
	v_sub_f32_e32 v9, v0, v11
	v_add_f32_e32 v0, v11, v0
	v_cndmask_b32_e32 v9, v9, v0, vcc
	s_nop 0
	;; [unrolled: 7-line block ×3, first 2 shown]
	v_mov_b32_dpp v0, v19 row_shl:4 row_mask:0xf bank_mask:0x5 bound_ctrl:1
	s_nop 1
	v_mov_b32_dpp v0, v19 row_shr:4 row_mask:0xf bank_mask:0xa bound_ctrl:1
	v_sub_f32_e32 v11, v0, v19
	v_add_f32_e32 v0, v19, v0
	v_cndmask_b32_e32 v11, v11, v0, vcc
	v_pk_mul_f32 v[18:19], v[2:3], s[4:5] op_sel_hi:[1,0]
	v_mov_b32_dpp v0, v20 row_shl:4 row_mask:0xf bank_mask:0x5 bound_ctrl:1
	v_pk_mul_f32 v[2:3], v[4:5], s[4:5] op_sel_hi:[1,0]
	v_pk_mul_f32 v[4:5], v[8:9], s[4:5] op_sel_hi:[1,0]
	v_mov_b32_dpp v0, v20 row_shr:4 row_mask:0xf bank_mask:0xa bound_ctrl:1
	v_sub_f32_e32 v12, v0, v20
	v_add_f32_e32 v0, v20, v0
	v_cndmask_b32_e32 v12, v12, v0, vcc
	s_mov_b32 s5, 0x7060302
	v_mov_b32_dpp v0, v21 row_shl:4 row_mask:0xf bank_mask:0x5 bound_ctrl:1
	v_perm_b32 v5, v5, v4, s5
	v_perm_b32 v4, v7, v6, s5
	v_mov_b32_dpp v0, v21 row_shr:4 row_mask:0xf bank_mask:0xa bound_ctrl:1
	v_sub_f32_e32 v13, v0, v21
	v_add_f32_e32 v0, v21, v0
	v_cndmask_b32_e32 v13, v13, v0, vcc
	v_perm_b32 v3, v3, v2, s5
	v_mov_b32_dpp v0, v14 row_shl:4 row_mask:0xf bank_mask:0x5 bound_ctrl:1
	v_perm_b32 v2, v19, v18, s5
	buffer_store_dwordx4 v[2:5], v1, s[0:3], 0 offen
	v_mov_b32_dpp v0, v14 row_shr:4 row_mask:0xf bank_mask:0xa bound_ctrl:1
	v_sub_f32_e32 v16, v0, v14
	v_add_f32_e32 v0, v14, v0
	v_cndmask_b32_e32 v14, v16, v0, vcc
	v_pk_mul_f32 v[6:7], v[10:11], s[4:5] op_sel_hi:[1,0]
	v_mov_b32_dpp v0, v15 row_shl:4 row_mask:0xf bank_mask:0x5 bound_ctrl:1
	v_pk_mul_f32 v[2:3], v[12:13], s[4:5] op_sel_hi:[1,0]
	v_perm_b32 v3, v3, v2, s5
	v_mov_b32_dpp v0, v15 row_shr:4 row_mask:0xf bank_mask:0xa bound_ctrl:1
	v_sub_f32_e32 v16, v0, v15
	v_add_f32_e32 v0, v15, v0
	v_cndmask_b32_e32 v15, v16, v0, vcc
	v_pk_mul_f32 v[8:9], v[14:15], s[4:5] op_sel_hi:[1,0]
	v_mov_b32_dpp v0, v22 row_shl:4 row_mask:0xf bank_mask:0x5 bound_ctrl:1
	v_perm_b32 v2, v7, v6, s5
	;;#ASMSTART
	s_nop 0
	;;#ASMEND
	s_nop 0
	v_mov_b32_dpp v0, v22 row_shr:4 row_mask:0xf bank_mask:0xa bound_ctrl:1
	v_sub_f32_e32 v16, v0, v22
	v_add_f32_e32 v0, v22, v0
	v_cndmask_b32_e32 v16, v16, v0, vcc
	s_nop 0
	v_mov_b32_dpp v0, v23 row_shl:4 row_mask:0xf bank_mask:0x5 bound_ctrl:1
	s_nop 1
	v_mov_b32_dpp v0, v23 row_shr:4 row_mask:0xf bank_mask:0xa bound_ctrl:1
	v_sub_f32_e32 v17, v0, v23
	v_add_f32_e32 v0, v23, v0
	v_cndmask_b32_e32 v17, v17, v0, vcc
	v_pk_mul_f32 v[4:5], v[16:17], s[4:5] op_sel_hi:[1,0]
	v_perm_b32 v5, v5, v4, s5
	v_perm_b32 v4, v9, v8, s5
	buffer_store_dwordx4 v[2:5], v1, s[0:3], 16 offen
	;;#ASMSTART
	s_nop 0
	;;#ASMEND
	s_endpgm
	.section	.rodata,"a",@progbits
	.p2align	6, 0x0
	.amdhsa_kernel _ZN5aiter50hadamard_rotate_activation_fp4quant_inplace_kernelItLi128ELb0ELi16EEEvPT_PKS1_iii
		.amdhsa_group_segment_fixed_size 0
		.amdhsa_private_segment_fixed_size 0
		.amdhsa_kernarg_size 28
		.amdhsa_user_sgpr_count 6
		.amdhsa_user_sgpr_private_segment_buffer 1
		.amdhsa_user_sgpr_dispatch_ptr 0
		.amdhsa_user_sgpr_queue_ptr 0
		.amdhsa_user_sgpr_kernarg_segment_ptr 1
		.amdhsa_user_sgpr_dispatch_id 0
		.amdhsa_user_sgpr_flat_scratch_init 0
		.amdhsa_user_sgpr_kernarg_preload_length 0
		.amdhsa_user_sgpr_kernarg_preload_offset 0
		.amdhsa_user_sgpr_private_segment_size 0
		.amdhsa_uses_dynamic_stack 0
		.amdhsa_system_sgpr_private_segment_wavefront_offset 0
		.amdhsa_system_sgpr_workgroup_id_x 1
		.amdhsa_system_sgpr_workgroup_id_y 0
		.amdhsa_system_sgpr_workgroup_id_z 0
		.amdhsa_system_sgpr_workgroup_info 0
		.amdhsa_system_vgpr_workitem_id 0
		.amdhsa_next_free_vgpr 42
		.amdhsa_next_free_sgpr 12
		.amdhsa_accum_offset 44
		.amdhsa_reserve_vcc 1
		.amdhsa_reserve_flat_scratch 0
		.amdhsa_float_round_mode_32 0
		.amdhsa_float_round_mode_16_64 0
		.amdhsa_float_denorm_mode_32 3
		.amdhsa_float_denorm_mode_16_64 3
		.amdhsa_dx10_clamp 1
		.amdhsa_ieee_mode 1
		.amdhsa_fp16_overflow 0
		.amdhsa_tg_split 0
		.amdhsa_exception_fp_ieee_invalid_op 0
		.amdhsa_exception_fp_denorm_src 0
		.amdhsa_exception_fp_ieee_div_zero 0
		.amdhsa_exception_fp_ieee_overflow 0
		.amdhsa_exception_fp_ieee_underflow 0
		.amdhsa_exception_fp_ieee_inexact 0
		.amdhsa_exception_int_div_zero 0
	.end_amdhsa_kernel
	.section	.text._ZN5aiter50hadamard_rotate_activation_fp4quant_inplace_kernelItLi128ELb0ELi16EEEvPT_PKS1_iii,"axG",@progbits,_ZN5aiter50hadamard_rotate_activation_fp4quant_inplace_kernelItLi128ELb0ELi16EEEvPT_PKS1_iii,comdat
.Lfunc_end10:
	.size	_ZN5aiter50hadamard_rotate_activation_fp4quant_inplace_kernelItLi128ELb0ELi16EEEvPT_PKS1_iii, .Lfunc_end10-_ZN5aiter50hadamard_rotate_activation_fp4quant_inplace_kernelItLi128ELb0ELi16EEEvPT_PKS1_iii
                                        ; -- End function
	.section	.AMDGPU.csdata,"",@progbits
; Kernel info:
; codeLenInByte = 2068
; NumSgprs: 16
; NumVgprs: 42
; NumAgprs: 0
; TotalNumVgprs: 42
; ScratchSize: 0
; MemoryBound: 0
; FloatMode: 240
; IeeeMode: 1
; LDSByteSize: 0 bytes/workgroup (compile time only)
; SGPRBlocks: 1
; VGPRBlocks: 5
; NumSGPRsForWavesPerEU: 16
; NumVGPRsForWavesPerEU: 42
; AccumOffset: 44
; Occupancy: 8
; WaveLimiterHint : 0
; COMPUTE_PGM_RSRC2:SCRATCH_EN: 0
; COMPUTE_PGM_RSRC2:USER_SGPR: 6
; COMPUTE_PGM_RSRC2:TRAP_HANDLER: 0
; COMPUTE_PGM_RSRC2:TGID_X_EN: 1
; COMPUTE_PGM_RSRC2:TGID_Y_EN: 0
; COMPUTE_PGM_RSRC2:TGID_Z_EN: 0
; COMPUTE_PGM_RSRC2:TIDIG_COMP_CNT: 0
; COMPUTE_PGM_RSRC3_GFX90A:ACCUM_OFFSET: 10
; COMPUTE_PGM_RSRC3_GFX90A:TG_SPLIT: 0
	.section	.text._ZN5aiter50hadamard_rotate_activation_fp4quant_inplace_kernelIDF16_Li256ELb0ELi16EEEvPT_PKS1_iii,"axG",@progbits,_ZN5aiter50hadamard_rotate_activation_fp4quant_inplace_kernelIDF16_Li256ELb0ELi16EEEvPT_PKS1_iii,comdat
	.protected	_ZN5aiter50hadamard_rotate_activation_fp4quant_inplace_kernelIDF16_Li256ELb0ELi16EEEvPT_PKS1_iii ; -- Begin function _ZN5aiter50hadamard_rotate_activation_fp4quant_inplace_kernelIDF16_Li256ELb0ELi16EEEvPT_PKS1_iii
	.globl	_ZN5aiter50hadamard_rotate_activation_fp4quant_inplace_kernelIDF16_Li256ELb0ELi16EEEvPT_PKS1_iii
	.p2align	8
	.type	_ZN5aiter50hadamard_rotate_activation_fp4quant_inplace_kernelIDF16_Li256ELb0ELi16EEEvPT_PKS1_iii,@function
_ZN5aiter50hadamard_rotate_activation_fp4quant_inplace_kernelIDF16_Li256ELb0ELi16EEEvPT_PKS1_iii: ; @_ZN5aiter50hadamard_rotate_activation_fp4quant_inplace_kernelIDF16_Li256ELb0ELi16EEEvPT_PKS1_iii
; %bb.0:
	s_load_dwordx2 s[0:1], s[4:5], 0x10
	s_load_dwordx4 s[8:11], s[4:5], 0x0
	s_lshl_b32 s2, s6, 2
	v_lshlrev_b32_e32 v1, 5, v0
	s_waitcnt lgkmcnt(0)
	s_sub_i32 s3, s0, s2
	s_cmp_lt_u32 s0, s2
	s_cselect_b32 s6, s3, 4
	s_mul_i32 s2, s2, s1
	s_mov_b32 s3, 0
	s_lshl_b64 s[4:5], s[2:3], 1
	s_add_u32 s0, s10, s4
	s_addc_u32 s3, s11, s5
	s_mul_i32 s1, s1, s6
	s_lshl_b32 s2, s1, 1
	s_and_b32 s1, s3, 0xffff
	s_mov_b32 s3, 0x20000
	buffer_load_dwordx4 v[2:5], v1, s[0:3], 0 offen
	buffer_load_dwordx4 v[6:9], v1, s[0:3], 16 offen
	s_add_u32 s0, s8, s4
	s_mov_b32 s4, 0x3d800000
	s_addc_u32 s1, s9, s5
	s_lshl_b32 s2, s6, 9
	s_and_b32 s1, s1, 0xffff
	s_waitcnt vmcnt(1)
	v_cvt_f32_f16_e32 v11, v3
	v_cvt_f32_f16_sdwa v10, v2 dst_sel:DWORD dst_unused:UNUSED_PAD src0_sel:WORD_1
	v_cvt_f32_f16_e32 v2, v2
	v_cvt_f32_f16_sdwa v3, v3 dst_sel:DWORD dst_unused:UNUSED_PAD src0_sel:WORD_1
	v_cvt_f32_f16_e32 v13, v5
	v_cvt_f32_f16_sdwa v12, v4 dst_sel:DWORD dst_unused:UNUSED_PAD src0_sel:WORD_1
	v_cvt_f32_f16_e32 v4, v4
	v_cvt_f32_f16_sdwa v5, v5 dst_sel:DWORD dst_unused:UNUSED_PAD src0_sel:WORD_1
	s_waitcnt vmcnt(0)
	v_cvt_f32_f16_e32 v15, v7
	v_cvt_f32_f16_sdwa v14, v6 dst_sel:DWORD dst_unused:UNUSED_PAD src0_sel:WORD_1
	v_cvt_f32_f16_e32 v6, v6
	v_cvt_f32_f16_sdwa v7, v7 dst_sel:DWORD dst_unused:UNUSED_PAD src0_sel:WORD_1
	;; [unrolled: 2-line block ×4, first 2 shown]
	v_mov_b32_e32 v18, v11
	v_mov_b32_e32 v19, v2
	v_mov_b32_e32 v20, v3
	v_mov_b32_e32 v21, v10
	v_pk_add_f32 v[22:23], v[10:11], v[2:3]
	v_pk_add_f32 v[2:3], v[10:11], v[2:3] neg_lo:[0,1] neg_hi:[0,1]
	v_mov_b32_e32 v10, v13
	v_mov_b32_e32 v11, v4
	v_mov_b32_e32 v24, v5
	v_mov_b32_e32 v25, v12
	v_pk_add_f32 v[26:27], v[12:13], v[4:5]
	v_pk_add_f32 v[4:5], v[12:13], v[4:5] neg_lo:[0,1] neg_hi:[0,1]
	;; [unrolled: 6-line block ×4, first 2 shown]
	v_pk_add_f32 v[16:17], v[18:19], v[20:21]
	v_pk_add_f32 v[18:19], v[18:19], v[20:21] neg_lo:[0,1] neg_hi:[0,1]
	v_pk_add_f32 v[20:21], v[10:11], v[24:25]
	v_pk_add_f32 v[10:11], v[10:11], v[24:25] neg_lo:[0,1] neg_hi:[0,1]
	;; [unrolled: 2-line block ×4, first 2 shown]
	v_mov_b32_e32 v23, v3
	v_mov_b32_e32 v27, v5
	;; [unrolled: 1-line block ×8, first 2 shown]
	v_pk_add_f32 v[32:33], v[22:23], v[16:17]
	v_pk_add_f32 v[36:37], v[26:27], v[20:21]
	;; [unrolled: 1-line block ×4, first 2 shown]
	v_mov_b32_e32 v23, v19
	v_mov_b32_e32 v17, v3
	;; [unrolled: 1-line block ×8, first 2 shown]
	v_pk_add_f32 v[2:3], v[32:33], v[36:37]
	v_pk_add_f32 v[4:5], v[38:39], v[40:41]
	v_pk_add_f32 v[6:7], v[22:23], v[16:17] neg_lo:[0,1] neg_hi:[0,1]
	v_pk_add_f32 v[8:9], v[26:27], v[20:21] neg_lo:[0,1] neg_hi:[0,1]
	;; [unrolled: 1-line block ×4, first 2 shown]
	v_pk_add_f32 v[18:19], v[2:3], v[4:5]
	v_pk_add_f32 v[2:3], v[2:3], v[4:5] neg_lo:[0,1] neg_hi:[0,1]
	v_pk_add_f32 v[4:5], v[6:7], v[8:9]
	v_pk_add_f32 v[6:7], v[6:7], v[8:9] neg_lo:[0,1] neg_hi:[0,1]
	v_pk_add_f32 v[8:9], v[10:11], v[12:13] neg_lo:[0,1] neg_hi:[0,1]
	v_pk_add_f32 v[20:21], v[10:11], v[12:13]
	v_pk_add_f32 v[10:11], v[6:7], v[8:9]
	v_pk_add_f32 v[6:7], v[6:7], v[8:9] neg_lo:[0,1] neg_hi:[0,1]
	v_and_b32_e32 v8, 1, v0
	v_sub_f32_dpp v9, v18, v18 quad_perm:[1,0,3,2] row_mask:0xf bank_mask:0xf bound_ctrl:1
	v_add_f32_dpp v12, v18, v18 quad_perm:[1,0,3,2] row_mask:0xf bank_mask:0xf bound_ctrl:1
	v_cmp_eq_u32_e32 vcc, 0, v8
	v_pk_add_f32 v[22:23], v[4:5], v[20:21]
	v_cndmask_b32_e32 v8, v9, v12, vcc
	v_sub_f32_dpp v9, v19, v19 quad_perm:[1,0,3,2] row_mask:0xf bank_mask:0xf bound_ctrl:1
	v_add_f32_dpp v12, v19, v19 quad_perm:[1,0,3,2] row_mask:0xf bank_mask:0xf bound_ctrl:1
	v_pk_add_f32 v[14:15], v[32:33], v[36:37] neg_lo:[0,1] neg_hi:[0,1]
	v_pk_add_f32 v[16:17], v[38:39], v[40:41] neg_lo:[0,1] neg_hi:[0,1]
	v_cndmask_b32_e32 v9, v9, v12, vcc
	v_sub_f32_dpp v12, v22, v22 quad_perm:[1,0,3,2] row_mask:0xf bank_mask:0xf bound_ctrl:1
	v_add_f32_dpp v13, v22, v22 quad_perm:[1,0,3,2] row_mask:0xf bank_mask:0xf bound_ctrl:1
	v_pk_add_f32 v[4:5], v[4:5], v[20:21] neg_lo:[0,1] neg_hi:[0,1]
	v_pk_add_f32 v[20:21], v[14:15], v[16:17]
	v_pk_add_f32 v[14:15], v[14:15], v[16:17] neg_lo:[0,1] neg_hi:[0,1]
	v_cndmask_b32_e32 v12, v12, v13, vcc
	v_sub_f32_dpp v13, v23, v23 quad_perm:[1,0,3,2] row_mask:0xf bank_mask:0xf bound_ctrl:1
	v_add_f32_dpp v16, v23, v23 quad_perm:[1,0,3,2] row_mask:0xf bank_mask:0xf bound_ctrl:1
	v_cndmask_b32_e32 v13, v13, v16, vcc
	v_add_f32_dpp v17, v20, v20 quad_perm:[1,0,3,2] row_mask:0xf bank_mask:0xf bound_ctrl:1
	v_sub_f32_dpp v16, v20, v20 quad_perm:[1,0,3,2] row_mask:0xf bank_mask:0xf bound_ctrl:1
	v_cndmask_b32_e32 v16, v16, v17, vcc
	v_sub_f32_dpp v17, v21, v21 quad_perm:[1,0,3,2] row_mask:0xf bank_mask:0xf bound_ctrl:1
	v_add_f32_dpp v18, v21, v21 quad_perm:[1,0,3,2] row_mask:0xf bank_mask:0xf bound_ctrl:1
	v_cndmask_b32_e32 v17, v17, v18, vcc
	v_sub_f32_dpp v19, v8, v8 quad_perm:[2,3,0,1] row_mask:0xf bank_mask:0xf bound_ctrl:1
	v_sub_f32_dpp v18, v10, v10 quad_perm:[1,0,3,2] row_mask:0xf bank_mask:0xf bound_ctrl:1
	v_add_f32_dpp v10, v10, v10 quad_perm:[1,0,3,2] row_mask:0xf bank_mask:0xf bound_ctrl:1
	v_cndmask_b32_e32 v10, v18, v10, vcc
	v_sub_f32_dpp v18, v11, v11 quad_perm:[1,0,3,2] row_mask:0xf bank_mask:0xf bound_ctrl:1
	v_add_f32_dpp v11, v11, v11 quad_perm:[1,0,3,2] row_mask:0xf bank_mask:0xf bound_ctrl:1
	v_cndmask_b32_e32 v11, v18, v11, vcc
	;; [unrolled: 3-line block ×10, first 2 shown]
	v_and_b32_e32 v18, 2, v0
	v_cmp_eq_u32_e32 vcc, 0, v18
	v_add_f32_dpp v8, v8, v8 quad_perm:[2,3,0,1] row_mask:0xf bank_mask:0xf bound_ctrl:1
	v_sub_f32_dpp v18, v9, v9 quad_perm:[2,3,0,1] row_mask:0xf bank_mask:0xf bound_ctrl:1
	v_add_f32_dpp v9, v9, v9 quad_perm:[2,3,0,1] row_mask:0xf bank_mask:0xf bound_ctrl:1
	v_cndmask_b32_e32 v9, v18, v9, vcc
	v_sub_f32_dpp v18, v12, v12 quad_perm:[2,3,0,1] row_mask:0xf bank_mask:0xf bound_ctrl:1
	v_add_f32_dpp v12, v12, v12 quad_perm:[2,3,0,1] row_mask:0xf bank_mask:0xf bound_ctrl:1
	v_cndmask_b32_e32 v12, v18, v12, vcc
	;; [unrolled: 3-line block ×14, first 2 shown]
	v_cndmask_b32_e32 v6, v18, v6, vcc
	v_sub_f32_dpp v18, v7, v7 quad_perm:[2,3,0,1] row_mask:0xf bank_mask:0xf bound_ctrl:1
	v_add_f32_dpp v7, v7, v7 quad_perm:[2,3,0,1] row_mask:0xf bank_mask:0xf bound_ctrl:1
	v_cndmask_b32_e32 v7, v18, v7, vcc
	v_mov_b32_dpp v18, v8 row_shl:4 row_mask:0xf bank_mask:0x5 bound_ctrl:1
	v_and_b32_e32 v19, 4, v0
	v_cmp_eq_u32_e32 vcc, 0, v19
	v_mov_b32_dpp v18, v8 row_shr:4 row_mask:0xf bank_mask:0xa bound_ctrl:1
	v_sub_f32_e32 v20, v18, v8
	v_add_f32_e32 v8, v8, v18
	v_mov_b32_dpp v18, v9 row_shl:4 row_mask:0xf bank_mask:0x5 bound_ctrl:1
	v_cndmask_b32_e32 v8, v20, v8, vcc
	v_and_b32_e32 v0, 8, v0
	v_mov_b32_dpp v18, v9 row_shr:4 row_mask:0xf bank_mask:0xa bound_ctrl:1
	v_sub_f32_e32 v19, v18, v9
	v_add_f32_e32 v9, v9, v18
	v_mov_b32_dpp v18, v12 row_shl:4 row_mask:0xf bank_mask:0x5 bound_ctrl:1
	v_cndmask_b32_e32 v9, v19, v9, vcc
	s_nop 0
	v_mov_b32_dpp v18, v12 row_shr:4 row_mask:0xf bank_mask:0xa bound_ctrl:1
	v_sub_f32_e32 v19, v18, v12
	v_add_f32_e32 v12, v12, v18
	v_mov_b32_dpp v18, v13 row_shl:4 row_mask:0xf bank_mask:0x5 bound_ctrl:1
	v_cndmask_b32_e32 v12, v19, v12, vcc
	s_nop 0
	;; [unrolled: 6-line block ×7, first 2 shown]
	v_mov_b32_dpp v18, v2 row_shr:4 row_mask:0xf bank_mask:0xa bound_ctrl:1
	v_sub_f32_e32 v19, v18, v2
	v_add_f32_e32 v2, v2, v18
	v_cndmask_b32_e32 v18, v19, v2, vcc
	s_nop 0
	v_mov_b32_dpp v2, v3 row_shl:4 row_mask:0xf bank_mask:0x5 bound_ctrl:1
	s_nop 1
	v_mov_b32_dpp v2, v3 row_shr:4 row_mask:0xf bank_mask:0xa bound_ctrl:1
	v_sub_f32_e32 v19, v2, v3
	v_add_f32_e32 v2, v3, v2
	v_cndmask_b32_e32 v19, v19, v2, vcc
	s_nop 0
	v_mov_b32_dpp v2, v4 row_shl:4 row_mask:0xf bank_mask:0x5 bound_ctrl:1
	s_nop 1
	v_mov_b32_dpp v2, v4 row_shr:4 row_mask:0xf bank_mask:0xa bound_ctrl:1
	v_sub_f32_e32 v3, v2, v4
	v_add_f32_e32 v2, v4, v2
	v_cndmask_b32_e32 v20, v3, v2, vcc
	v_add_f32_dpp v4, v12, v12 row_ror:8 row_mask:0xf bank_mask:0xf bound_ctrl:1
	v_mov_b32_dpp v2, v5 row_shl:4 row_mask:0xf bank_mask:0x5 bound_ctrl:1
	s_nop 1
	v_mov_b32_dpp v2, v5 row_shr:4 row_mask:0xf bank_mask:0xa bound_ctrl:1
	v_sub_f32_e32 v3, v2, v5
	v_add_f32_e32 v2, v5, v2
	v_cndmask_b32_e32 v21, v3, v2, vcc
	v_add_f32_dpp v5, v13, v13 row_ror:8 row_mask:0xf bank_mask:0xf bound_ctrl:1
	v_mov_b32_dpp v2, v14 row_shl:4 row_mask:0xf bank_mask:0x5 bound_ctrl:1
	s_nop 1
	v_mov_b32_dpp v2, v14 row_shr:4 row_mask:0xf bank_mask:0xa bound_ctrl:1
	v_sub_f32_e32 v3, v2, v14
	v_add_f32_e32 v2, v14, v2
	v_cndmask_b32_e32 v14, v3, v2, vcc
	s_nop 0
	v_mov_b32_dpp v2, v15 row_shl:4 row_mask:0xf bank_mask:0x5 bound_ctrl:1
	s_nop 1
	v_mov_b32_dpp v2, v15 row_shr:4 row_mask:0xf bank_mask:0xa bound_ctrl:1
	v_sub_f32_e32 v3, v2, v15
	v_add_f32_e32 v2, v15, v2
	v_cndmask_b32_e32 v15, v3, v2, vcc
	s_nop 0
	v_mov_b32_dpp v2, v6 row_shl:4 row_mask:0xf bank_mask:0x5 bound_ctrl:1
	s_nop 1
	v_mov_b32_dpp v2, v6 row_shr:4 row_mask:0xf bank_mask:0xa bound_ctrl:1
	v_sub_f32_e32 v3, v2, v6
	v_add_f32_e32 v2, v6, v2
	v_cndmask_b32_e32 v22, v3, v2, vcc
	v_add_f32_dpp v6, v16, v16 row_ror:8 row_mask:0xf bank_mask:0xf bound_ctrl:1
	v_mov_b32_dpp v2, v7 row_shl:4 row_mask:0xf bank_mask:0x5 bound_ctrl:1
	s_nop 1
	v_mov_b32_dpp v2, v7 row_shr:4 row_mask:0xf bank_mask:0xa bound_ctrl:1
	v_sub_f32_e32 v3, v2, v7
	v_add_f32_e32 v2, v7, v2
	v_cndmask_b32_e32 v23, v3, v2, vcc
	v_add_f32_dpp v3, v8, v8 row_ror:8 row_mask:0xf bank_mask:0xf bound_ctrl:1
	v_sub_f32_dpp v2, v8, v8 row_ror:8 row_mask:0xf bank_mask:0xf bound_ctrl:1
	v_cmp_eq_u32_e32 vcc, 0, v0
	v_cndmask_b32_e32 v0, v2, v3, vcc
	v_sub_f32_dpp v2, v9, v9 row_ror:8 row_mask:0xf bank_mask:0xf bound_ctrl:1
	v_add_f32_dpp v3, v9, v9 row_ror:8 row_mask:0xf bank_mask:0xf bound_ctrl:1
	v_cndmask_b32_e32 v2, v2, v3, vcc
	v_add_f32_dpp v7, v17, v17 row_ror:8 row_mask:0xf bank_mask:0xf bound_ctrl:1
	v_sub_f32_dpp v3, v12, v12 row_ror:8 row_mask:0xf bank_mask:0xf bound_ctrl:1
	v_cndmask_b32_e32 v3, v3, v4, vcc
	v_sub_f32_dpp v4, v13, v13 row_ror:8 row_mask:0xf bank_mask:0xf bound_ctrl:1
	v_cndmask_b32_e32 v4, v4, v5, vcc
	;; [unrolled: 2-line block ×4, first 2 shown]
	v_sub_f32_dpp v7, v10, v10 row_ror:8 row_mask:0xf bank_mask:0xf bound_ctrl:1
	v_add_f32_dpp v8, v10, v10 row_ror:8 row_mask:0xf bank_mask:0xf bound_ctrl:1
	v_cndmask_b32_e32 v7, v7, v8, vcc
	v_add_f32_dpp v9, v11, v11 row_ror:8 row_mask:0xf bank_mask:0xf bound_ctrl:1
	v_sub_f32_dpp v8, v11, v11 row_ror:8 row_mask:0xf bank_mask:0xf bound_ctrl:1
	v_cndmask_b32_e32 v16, v8, v9, vcc
	v_add_f32_dpp v9, v18, v18 row_ror:8 row_mask:0xf bank_mask:0xf bound_ctrl:1
	v_sub_f32_dpp v8, v18, v18 row_ror:8 row_mask:0xf bank_mask:0xf bound_ctrl:1
	;; [unrolled: 3-line block ×3, first 2 shown]
	v_cndmask_b32_e32 v8, v8, v9, vcc
	v_sub_f32_dpp v9, v20, v20 row_ror:8 row_mask:0xf bank_mask:0xf bound_ctrl:1
	v_add_f32_dpp v10, v20, v20 row_ror:8 row_mask:0xf bank_mask:0xf bound_ctrl:1
	v_cndmask_b32_e32 v9, v9, v10, vcc
	v_add_f32_dpp v11, v21, v21 row_ror:8 row_mask:0xf bank_mask:0xf bound_ctrl:1
	v_sub_f32_dpp v10, v21, v21 row_ror:8 row_mask:0xf bank_mask:0xf bound_ctrl:1
	v_cndmask_b32_e32 v10, v10, v11, vcc
	v_sub_f32_dpp v11, v14, v14 row_ror:8 row_mask:0xf bank_mask:0xf bound_ctrl:1
	v_add_f32_dpp v12, v14, v14 row_ror:8 row_mask:0xf bank_mask:0xf bound_ctrl:1
	v_cndmask_b32_e32 v11, v11, v12, vcc
	v_add_f32_dpp v13, v15, v15 row_ror:8 row_mask:0xf bank_mask:0xf bound_ctrl:1
	v_sub_f32_dpp v12, v15, v15 row_ror:8 row_mask:0xf bank_mask:0xf bound_ctrl:1
	v_cndmask_b32_e32 v12, v12, v13, vcc
	v_sub_f32_dpp v13, v22, v22 row_ror:8 row_mask:0xf bank_mask:0xf bound_ctrl:1
	v_add_f32_dpp v14, v22, v22 row_ror:8 row_mask:0xf bank_mask:0xf bound_ctrl:1
	v_cndmask_b32_e32 v13, v13, v14, vcc
	v_add_f32_dpp v15, v23, v23 row_ror:8 row_mask:0xf bank_mask:0xf bound_ctrl:1
	v_sub_f32_dpp v14, v23, v23 row_ror:8 row_mask:0xf bank_mask:0xf bound_ctrl:1
	v_pk_mul_f32 v[2:3], v[2:3], s[4:5] op_sel_hi:[1,0]
	v_pk_mul_f32 v[4:5], v[4:5], s[4:5] op_sel_hi:[1,0]
	;; [unrolled: 1-line block ×3, first 2 shown]
	v_cndmask_b32_e32 v14, v14, v15, vcc
	v_cvt_f16_f32_e32 v3, v3
	v_cvt_f16_f32_e32 v15, v5
	;; [unrolled: 1-line block ×6, first 2 shown]
	v_fma_mixlo_f16 v0, v0, s4, 0
	v_pack_b32_f16 v4, v15, v6
	v_pack_b32_f16 v3, v3, v18
	;; [unrolled: 1-line block ×3, first 2 shown]
	v_fma_mixhi_f16 v5, v16, s4, 0
	buffer_store_dwordx4 v[2:5], v1, s[0:3], 0 offen
	v_pk_mul_f32 v[6:7], v[12:13], s[4:5] op_sel_hi:[1,0]
	v_pk_mul_f32 v[2:3], v[8:9], s[4:5] op_sel_hi:[1,0]
	;; [unrolled: 1-line block ×3, first 2 shown]
	v_cvt_f16_f32_e32 v3, v3
	v_cvt_f16_f32_e32 v8, v5
	;; [unrolled: 1-line block ×6, first 2 shown]
	v_fma_mixlo_f16 v0, v17, s4, 0
	v_pack_b32_f16 v4, v8, v6
	v_pack_b32_f16 v3, v3, v9
	v_pack_b32_f16 v2, v0, v2
	v_fma_mixhi_f16 v5, v14, s4, 0
	;;#ASMSTART
	s_nop 0
	;;#ASMEND
	buffer_store_dwordx4 v[2:5], v1, s[0:3], 16 offen
	;;#ASMSTART
	s_nop 0
	;;#ASMEND
	s_endpgm
	.section	.rodata,"a",@progbits
	.p2align	6, 0x0
	.amdhsa_kernel _ZN5aiter50hadamard_rotate_activation_fp4quant_inplace_kernelIDF16_Li256ELb0ELi16EEEvPT_PKS1_iii
		.amdhsa_group_segment_fixed_size 0
		.amdhsa_private_segment_fixed_size 0
		.amdhsa_kernarg_size 28
		.amdhsa_user_sgpr_count 6
		.amdhsa_user_sgpr_private_segment_buffer 1
		.amdhsa_user_sgpr_dispatch_ptr 0
		.amdhsa_user_sgpr_queue_ptr 0
		.amdhsa_user_sgpr_kernarg_segment_ptr 1
		.amdhsa_user_sgpr_dispatch_id 0
		.amdhsa_user_sgpr_flat_scratch_init 0
		.amdhsa_user_sgpr_kernarg_preload_length 0
		.amdhsa_user_sgpr_kernarg_preload_offset 0
		.amdhsa_user_sgpr_private_segment_size 0
		.amdhsa_uses_dynamic_stack 0
		.amdhsa_system_sgpr_private_segment_wavefront_offset 0
		.amdhsa_system_sgpr_workgroup_id_x 1
		.amdhsa_system_sgpr_workgroup_id_y 0
		.amdhsa_system_sgpr_workgroup_id_z 0
		.amdhsa_system_sgpr_workgroup_info 0
		.amdhsa_system_vgpr_workitem_id 0
		.amdhsa_next_free_vgpr 42
		.amdhsa_next_free_sgpr 12
		.amdhsa_accum_offset 44
		.amdhsa_reserve_vcc 1
		.amdhsa_reserve_flat_scratch 0
		.amdhsa_float_round_mode_32 0
		.amdhsa_float_round_mode_16_64 0
		.amdhsa_float_denorm_mode_32 3
		.amdhsa_float_denorm_mode_16_64 3
		.amdhsa_dx10_clamp 1
		.amdhsa_ieee_mode 1
		.amdhsa_fp16_overflow 0
		.amdhsa_tg_split 0
		.amdhsa_exception_fp_ieee_invalid_op 0
		.amdhsa_exception_fp_denorm_src 0
		.amdhsa_exception_fp_ieee_div_zero 0
		.amdhsa_exception_fp_ieee_overflow 0
		.amdhsa_exception_fp_ieee_underflow 0
		.amdhsa_exception_fp_ieee_inexact 0
		.amdhsa_exception_int_div_zero 0
	.end_amdhsa_kernel
	.section	.text._ZN5aiter50hadamard_rotate_activation_fp4quant_inplace_kernelIDF16_Li256ELb0ELi16EEEvPT_PKS1_iii,"axG",@progbits,_ZN5aiter50hadamard_rotate_activation_fp4quant_inplace_kernelIDF16_Li256ELb0ELi16EEEvPT_PKS1_iii,comdat
.Lfunc_end11:
	.size	_ZN5aiter50hadamard_rotate_activation_fp4quant_inplace_kernelIDF16_Li256ELb0ELi16EEEvPT_PKS1_iii, .Lfunc_end11-_ZN5aiter50hadamard_rotate_activation_fp4quant_inplace_kernelIDF16_Li256ELb0ELi16EEEvPT_PKS1_iii
                                        ; -- End function
	.section	.AMDGPU.csdata,"",@progbits
; Kernel info:
; codeLenInByte = 2404
; NumSgprs: 16
; NumVgprs: 42
; NumAgprs: 0
; TotalNumVgprs: 42
; ScratchSize: 0
; MemoryBound: 0
; FloatMode: 240
; IeeeMode: 1
; LDSByteSize: 0 bytes/workgroup (compile time only)
; SGPRBlocks: 1
; VGPRBlocks: 5
; NumSGPRsForWavesPerEU: 16
; NumVGPRsForWavesPerEU: 42
; AccumOffset: 44
; Occupancy: 8
; WaveLimiterHint : 0
; COMPUTE_PGM_RSRC2:SCRATCH_EN: 0
; COMPUTE_PGM_RSRC2:USER_SGPR: 6
; COMPUTE_PGM_RSRC2:TRAP_HANDLER: 0
; COMPUTE_PGM_RSRC2:TGID_X_EN: 1
; COMPUTE_PGM_RSRC2:TGID_Y_EN: 0
; COMPUTE_PGM_RSRC2:TGID_Z_EN: 0
; COMPUTE_PGM_RSRC2:TIDIG_COMP_CNT: 0
; COMPUTE_PGM_RSRC3_GFX90A:ACCUM_OFFSET: 10
; COMPUTE_PGM_RSRC3_GFX90A:TG_SPLIT: 0
	.section	.text._ZN5aiter50hadamard_rotate_activation_fp4quant_inplace_kernelItLi256ELb0ELi16EEEvPT_PKS1_iii,"axG",@progbits,_ZN5aiter50hadamard_rotate_activation_fp4quant_inplace_kernelItLi256ELb0ELi16EEEvPT_PKS1_iii,comdat
	.protected	_ZN5aiter50hadamard_rotate_activation_fp4quant_inplace_kernelItLi256ELb0ELi16EEEvPT_PKS1_iii ; -- Begin function _ZN5aiter50hadamard_rotate_activation_fp4quant_inplace_kernelItLi256ELb0ELi16EEEvPT_PKS1_iii
	.globl	_ZN5aiter50hadamard_rotate_activation_fp4quant_inplace_kernelItLi256ELb0ELi16EEEvPT_PKS1_iii
	.p2align	8
	.type	_ZN5aiter50hadamard_rotate_activation_fp4quant_inplace_kernelItLi256ELb0ELi16EEEvPT_PKS1_iii,@function
_ZN5aiter50hadamard_rotate_activation_fp4quant_inplace_kernelItLi256ELb0ELi16EEEvPT_PKS1_iii: ; @_ZN5aiter50hadamard_rotate_activation_fp4quant_inplace_kernelItLi256ELb0ELi16EEEvPT_PKS1_iii
; %bb.0:
	s_load_dwordx2 s[0:1], s[4:5], 0x10
	s_load_dwordx4 s[8:11], s[4:5], 0x0
	s_lshl_b32 s2, s6, 2
	v_lshlrev_b32_e32 v1, 5, v0
	s_waitcnt lgkmcnt(0)
	s_sub_i32 s3, s0, s2
	s_cmp_lt_u32 s0, s2
	s_cselect_b32 s6, s3, 4
	s_mul_i32 s2, s2, s1
	s_mov_b32 s3, 0
	s_lshl_b64 s[4:5], s[2:3], 1
	s_add_u32 s0, s10, s4
	s_addc_u32 s3, s11, s5
	s_mul_i32 s1, s1, s6
	s_lshl_b32 s2, s1, 1
	s_and_b32 s1, s3, 0xffff
	s_mov_b32 s3, 0x20000
	buffer_load_dwordx4 v[2:5], v1, s[0:3], 0 offen
	buffer_load_dwordx4 v[6:9], v1, s[0:3], 16 offen
	s_add_u32 s0, s8, s4
	s_mov_b32 s4, 0x3d800000
	s_addc_u32 s1, s9, s5
	s_lshl_b32 s2, s6, 9
	s_and_b32 s1, s1, 0xffff
	s_waitcnt vmcnt(1)
	v_cvt_f32_u32_sdwa v11, v3 dst_sel:DWORD dst_unused:UNUSED_PAD src0_sel:WORD_0
	v_cvt_f32_u32_sdwa v10, v2 dst_sel:DWORD dst_unused:UNUSED_PAD src0_sel:WORD_1
	v_cvt_f32_u32_sdwa v3, v3 dst_sel:DWORD dst_unused:UNUSED_PAD src0_sel:WORD_1
	v_cvt_f32_u32_sdwa v2, v2 dst_sel:DWORD dst_unused:UNUSED_PAD src0_sel:WORD_0
	v_cvt_f32_u32_sdwa v13, v5 dst_sel:DWORD dst_unused:UNUSED_PAD src0_sel:WORD_0
	v_cvt_f32_u32_sdwa v12, v4 dst_sel:DWORD dst_unused:UNUSED_PAD src0_sel:WORD_1
	v_cvt_f32_u32_sdwa v5, v5 dst_sel:DWORD dst_unused:UNUSED_PAD src0_sel:WORD_1
	v_cvt_f32_u32_sdwa v4, v4 dst_sel:DWORD dst_unused:UNUSED_PAD src0_sel:WORD_0
	s_waitcnt vmcnt(0)
	v_cvt_f32_u32_sdwa v15, v7 dst_sel:DWORD dst_unused:UNUSED_PAD src0_sel:WORD_0
	v_cvt_f32_u32_sdwa v14, v6 dst_sel:DWORD dst_unused:UNUSED_PAD src0_sel:WORD_1
	v_cvt_f32_u32_sdwa v7, v7 dst_sel:DWORD dst_unused:UNUSED_PAD src0_sel:WORD_1
	v_cvt_f32_u32_sdwa v6, v6 dst_sel:DWORD dst_unused:UNUSED_PAD src0_sel:WORD_0
	v_cvt_f32_u32_sdwa v17, v9 dst_sel:DWORD dst_unused:UNUSED_PAD src0_sel:WORD_0
	v_cvt_f32_u32_sdwa v16, v8 dst_sel:DWORD dst_unused:UNUSED_PAD src0_sel:WORD_1
	v_cvt_f32_u32_sdwa v9, v9 dst_sel:DWORD dst_unused:UNUSED_PAD src0_sel:WORD_1
	v_cvt_f32_u32_sdwa v8, v8 dst_sel:DWORD dst_unused:UNUSED_PAD src0_sel:WORD_0
	v_mov_b32_e32 v18, v11
	v_mov_b32_e32 v19, v2
	v_mov_b32_e32 v20, v3
	v_mov_b32_e32 v21, v10
	v_pk_add_f32 v[22:23], v[10:11], v[2:3]
	v_pk_add_f32 v[2:3], v[10:11], v[2:3] neg_lo:[0,1] neg_hi:[0,1]
	v_mov_b32_e32 v10, v13
	v_mov_b32_e32 v11, v4
	v_mov_b32_e32 v24, v5
	v_mov_b32_e32 v25, v12
	v_pk_add_f32 v[26:27], v[12:13], v[4:5]
	v_pk_add_f32 v[4:5], v[12:13], v[4:5] neg_lo:[0,1] neg_hi:[0,1]
	;; [unrolled: 6-line block ×4, first 2 shown]
	v_pk_add_f32 v[16:17], v[18:19], v[20:21]
	v_pk_add_f32 v[18:19], v[18:19], v[20:21] neg_lo:[0,1] neg_hi:[0,1]
	v_pk_add_f32 v[20:21], v[10:11], v[24:25]
	v_pk_add_f32 v[10:11], v[10:11], v[24:25] neg_lo:[0,1] neg_hi:[0,1]
	;; [unrolled: 2-line block ×4, first 2 shown]
	v_mov_b32_e32 v23, v3
	v_mov_b32_e32 v27, v5
	;; [unrolled: 1-line block ×8, first 2 shown]
	v_pk_add_f32 v[32:33], v[22:23], v[16:17]
	v_pk_add_f32 v[36:37], v[26:27], v[20:21]
	;; [unrolled: 1-line block ×4, first 2 shown]
	v_mov_b32_e32 v23, v19
	v_mov_b32_e32 v17, v3
	;; [unrolled: 1-line block ×8, first 2 shown]
	v_pk_add_f32 v[2:3], v[32:33], v[36:37]
	v_pk_add_f32 v[4:5], v[38:39], v[40:41]
	v_pk_add_f32 v[6:7], v[22:23], v[16:17] neg_lo:[0,1] neg_hi:[0,1]
	v_pk_add_f32 v[8:9], v[26:27], v[20:21] neg_lo:[0,1] neg_hi:[0,1]
	;; [unrolled: 1-line block ×4, first 2 shown]
	v_pk_add_f32 v[18:19], v[2:3], v[4:5]
	v_pk_add_f32 v[2:3], v[2:3], v[4:5] neg_lo:[0,1] neg_hi:[0,1]
	v_pk_add_f32 v[4:5], v[6:7], v[8:9]
	v_pk_add_f32 v[6:7], v[6:7], v[8:9] neg_lo:[0,1] neg_hi:[0,1]
	v_pk_add_f32 v[8:9], v[10:11], v[12:13] neg_lo:[0,1] neg_hi:[0,1]
	v_pk_add_f32 v[20:21], v[10:11], v[12:13]
	v_pk_add_f32 v[10:11], v[6:7], v[8:9]
	v_pk_add_f32 v[6:7], v[6:7], v[8:9] neg_lo:[0,1] neg_hi:[0,1]
	v_and_b32_e32 v8, 1, v0
	v_sub_f32_dpp v9, v18, v18 quad_perm:[1,0,3,2] row_mask:0xf bank_mask:0xf bound_ctrl:1
	v_add_f32_dpp v12, v18, v18 quad_perm:[1,0,3,2] row_mask:0xf bank_mask:0xf bound_ctrl:1
	v_cmp_eq_u32_e32 vcc, 0, v8
	v_pk_add_f32 v[22:23], v[4:5], v[20:21]
	v_cndmask_b32_e32 v8, v9, v12, vcc
	v_sub_f32_dpp v9, v19, v19 quad_perm:[1,0,3,2] row_mask:0xf bank_mask:0xf bound_ctrl:1
	v_add_f32_dpp v12, v19, v19 quad_perm:[1,0,3,2] row_mask:0xf bank_mask:0xf bound_ctrl:1
	v_pk_add_f32 v[14:15], v[32:33], v[36:37] neg_lo:[0,1] neg_hi:[0,1]
	v_pk_add_f32 v[16:17], v[38:39], v[40:41] neg_lo:[0,1] neg_hi:[0,1]
	v_cndmask_b32_e32 v9, v9, v12, vcc
	v_sub_f32_dpp v12, v22, v22 quad_perm:[1,0,3,2] row_mask:0xf bank_mask:0xf bound_ctrl:1
	v_add_f32_dpp v13, v22, v22 quad_perm:[1,0,3,2] row_mask:0xf bank_mask:0xf bound_ctrl:1
	v_pk_add_f32 v[4:5], v[4:5], v[20:21] neg_lo:[0,1] neg_hi:[0,1]
	v_pk_add_f32 v[20:21], v[14:15], v[16:17]
	v_pk_add_f32 v[14:15], v[14:15], v[16:17] neg_lo:[0,1] neg_hi:[0,1]
	v_cndmask_b32_e32 v12, v12, v13, vcc
	v_sub_f32_dpp v13, v23, v23 quad_perm:[1,0,3,2] row_mask:0xf bank_mask:0xf bound_ctrl:1
	v_add_f32_dpp v16, v23, v23 quad_perm:[1,0,3,2] row_mask:0xf bank_mask:0xf bound_ctrl:1
	v_cndmask_b32_e32 v13, v13, v16, vcc
	v_add_f32_dpp v17, v20, v20 quad_perm:[1,0,3,2] row_mask:0xf bank_mask:0xf bound_ctrl:1
	v_sub_f32_dpp v16, v20, v20 quad_perm:[1,0,3,2] row_mask:0xf bank_mask:0xf bound_ctrl:1
	v_cndmask_b32_e32 v16, v16, v17, vcc
	v_sub_f32_dpp v17, v21, v21 quad_perm:[1,0,3,2] row_mask:0xf bank_mask:0xf bound_ctrl:1
	v_add_f32_dpp v18, v21, v21 quad_perm:[1,0,3,2] row_mask:0xf bank_mask:0xf bound_ctrl:1
	v_cndmask_b32_e32 v17, v17, v18, vcc
	v_sub_f32_dpp v19, v8, v8 quad_perm:[2,3,0,1] row_mask:0xf bank_mask:0xf bound_ctrl:1
	v_sub_f32_dpp v18, v10, v10 quad_perm:[1,0,3,2] row_mask:0xf bank_mask:0xf bound_ctrl:1
	v_add_f32_dpp v10, v10, v10 quad_perm:[1,0,3,2] row_mask:0xf bank_mask:0xf bound_ctrl:1
	v_cndmask_b32_e32 v10, v18, v10, vcc
	v_sub_f32_dpp v18, v11, v11 quad_perm:[1,0,3,2] row_mask:0xf bank_mask:0xf bound_ctrl:1
	v_add_f32_dpp v11, v11, v11 quad_perm:[1,0,3,2] row_mask:0xf bank_mask:0xf bound_ctrl:1
	v_cndmask_b32_e32 v11, v18, v11, vcc
	;; [unrolled: 3-line block ×10, first 2 shown]
	v_and_b32_e32 v18, 2, v0
	v_cmp_eq_u32_e32 vcc, 0, v18
	v_add_f32_dpp v8, v8, v8 quad_perm:[2,3,0,1] row_mask:0xf bank_mask:0xf bound_ctrl:1
	v_sub_f32_dpp v18, v9, v9 quad_perm:[2,3,0,1] row_mask:0xf bank_mask:0xf bound_ctrl:1
	v_add_f32_dpp v9, v9, v9 quad_perm:[2,3,0,1] row_mask:0xf bank_mask:0xf bound_ctrl:1
	v_cndmask_b32_e32 v9, v18, v9, vcc
	v_sub_f32_dpp v18, v12, v12 quad_perm:[2,3,0,1] row_mask:0xf bank_mask:0xf bound_ctrl:1
	v_add_f32_dpp v12, v12, v12 quad_perm:[2,3,0,1] row_mask:0xf bank_mask:0xf bound_ctrl:1
	v_cndmask_b32_e32 v12, v18, v12, vcc
	;; [unrolled: 3-line block ×14, first 2 shown]
	v_cndmask_b32_e32 v6, v18, v6, vcc
	v_sub_f32_dpp v18, v7, v7 quad_perm:[2,3,0,1] row_mask:0xf bank_mask:0xf bound_ctrl:1
	v_add_f32_dpp v7, v7, v7 quad_perm:[2,3,0,1] row_mask:0xf bank_mask:0xf bound_ctrl:1
	v_cndmask_b32_e32 v7, v18, v7, vcc
	v_mov_b32_dpp v18, v8 row_shl:4 row_mask:0xf bank_mask:0x5 bound_ctrl:1
	v_and_b32_e32 v19, 4, v0
	v_cmp_eq_u32_e32 vcc, 0, v19
	v_mov_b32_dpp v18, v8 row_shr:4 row_mask:0xf bank_mask:0xa bound_ctrl:1
	v_sub_f32_e32 v20, v18, v8
	v_add_f32_e32 v8, v8, v18
	v_mov_b32_dpp v18, v9 row_shl:4 row_mask:0xf bank_mask:0x5 bound_ctrl:1
	v_cndmask_b32_e32 v8, v20, v8, vcc
	v_and_b32_e32 v0, 8, v0
	v_mov_b32_dpp v18, v9 row_shr:4 row_mask:0xf bank_mask:0xa bound_ctrl:1
	v_sub_f32_e32 v19, v18, v9
	v_add_f32_e32 v9, v9, v18
	v_mov_b32_dpp v18, v12 row_shl:4 row_mask:0xf bank_mask:0x5 bound_ctrl:1
	v_cndmask_b32_e32 v9, v19, v9, vcc
	s_nop 0
	v_mov_b32_dpp v18, v12 row_shr:4 row_mask:0xf bank_mask:0xa bound_ctrl:1
	v_sub_f32_e32 v19, v18, v12
	v_add_f32_e32 v12, v12, v18
	v_mov_b32_dpp v18, v13 row_shl:4 row_mask:0xf bank_mask:0x5 bound_ctrl:1
	v_cndmask_b32_e32 v12, v19, v12, vcc
	s_nop 0
	;; [unrolled: 6-line block ×7, first 2 shown]
	v_mov_b32_dpp v18, v2 row_shr:4 row_mask:0xf bank_mask:0xa bound_ctrl:1
	v_sub_f32_e32 v19, v18, v2
	v_add_f32_e32 v2, v2, v18
	v_cndmask_b32_e32 v18, v19, v2, vcc
	s_nop 0
	v_mov_b32_dpp v2, v3 row_shl:4 row_mask:0xf bank_mask:0x5 bound_ctrl:1
	s_nop 1
	v_mov_b32_dpp v2, v3 row_shr:4 row_mask:0xf bank_mask:0xa bound_ctrl:1
	v_sub_f32_e32 v19, v2, v3
	v_add_f32_e32 v2, v3, v2
	v_cndmask_b32_e32 v19, v19, v2, vcc
	s_nop 0
	v_mov_b32_dpp v2, v4 row_shl:4 row_mask:0xf bank_mask:0x5 bound_ctrl:1
	s_nop 1
	v_mov_b32_dpp v2, v4 row_shr:4 row_mask:0xf bank_mask:0xa bound_ctrl:1
	v_sub_f32_e32 v3, v2, v4
	v_add_f32_e32 v2, v4, v2
	v_cndmask_b32_e32 v20, v3, v2, vcc
	v_add_f32_dpp v4, v12, v12 row_ror:8 row_mask:0xf bank_mask:0xf bound_ctrl:1
	v_mov_b32_dpp v2, v5 row_shl:4 row_mask:0xf bank_mask:0x5 bound_ctrl:1
	s_nop 1
	v_mov_b32_dpp v2, v5 row_shr:4 row_mask:0xf bank_mask:0xa bound_ctrl:1
	v_sub_f32_e32 v3, v2, v5
	v_add_f32_e32 v2, v5, v2
	v_cndmask_b32_e32 v21, v3, v2, vcc
	v_add_f32_dpp v5, v13, v13 row_ror:8 row_mask:0xf bank_mask:0xf bound_ctrl:1
	v_mov_b32_dpp v2, v14 row_shl:4 row_mask:0xf bank_mask:0x5 bound_ctrl:1
	s_nop 1
	v_mov_b32_dpp v2, v14 row_shr:4 row_mask:0xf bank_mask:0xa bound_ctrl:1
	v_sub_f32_e32 v3, v2, v14
	v_add_f32_e32 v2, v14, v2
	v_cndmask_b32_e32 v14, v3, v2, vcc
	s_nop 0
	v_mov_b32_dpp v2, v15 row_shl:4 row_mask:0xf bank_mask:0x5 bound_ctrl:1
	s_nop 1
	v_mov_b32_dpp v2, v15 row_shr:4 row_mask:0xf bank_mask:0xa bound_ctrl:1
	v_sub_f32_e32 v3, v2, v15
	v_add_f32_e32 v2, v15, v2
	v_cndmask_b32_e32 v15, v3, v2, vcc
	s_nop 0
	v_mov_b32_dpp v2, v6 row_shl:4 row_mask:0xf bank_mask:0x5 bound_ctrl:1
	s_nop 1
	v_mov_b32_dpp v2, v6 row_shr:4 row_mask:0xf bank_mask:0xa bound_ctrl:1
	v_sub_f32_e32 v3, v2, v6
	v_add_f32_e32 v2, v6, v2
	v_cndmask_b32_e32 v22, v3, v2, vcc
	v_add_f32_dpp v6, v16, v16 row_ror:8 row_mask:0xf bank_mask:0xf bound_ctrl:1
	v_mov_b32_dpp v2, v7 row_shl:4 row_mask:0xf bank_mask:0x5 bound_ctrl:1
	s_nop 1
	v_mov_b32_dpp v2, v7 row_shr:4 row_mask:0xf bank_mask:0xa bound_ctrl:1
	v_sub_f32_e32 v3, v2, v7
	v_add_f32_e32 v2, v7, v2
	v_cndmask_b32_e32 v23, v3, v2, vcc
	v_add_f32_dpp v3, v8, v8 row_ror:8 row_mask:0xf bank_mask:0xf bound_ctrl:1
	v_sub_f32_dpp v2, v8, v8 row_ror:8 row_mask:0xf bank_mask:0xf bound_ctrl:1
	v_cmp_eq_u32_e32 vcc, 0, v0
	v_cndmask_b32_e32 v2, v2, v3, vcc
	v_sub_f32_dpp v0, v9, v9 row_ror:8 row_mask:0xf bank_mask:0xf bound_ctrl:1
	v_add_f32_dpp v3, v9, v9 row_ror:8 row_mask:0xf bank_mask:0xf bound_ctrl:1
	v_cndmask_b32_e32 v3, v0, v3, vcc
	v_sub_f32_dpp v0, v12, v12 row_ror:8 row_mask:0xf bank_mask:0xf bound_ctrl:1
	v_cndmask_b32_e32 v4, v0, v4, vcc
	v_add_f32_dpp v7, v17, v17 row_ror:8 row_mask:0xf bank_mask:0xf bound_ctrl:1
	v_sub_f32_dpp v0, v13, v13 row_ror:8 row_mask:0xf bank_mask:0xf bound_ctrl:1
	v_cndmask_b32_e32 v5, v0, v5, vcc
	v_add_f32_dpp v8, v10, v10 row_ror:8 row_mask:0xf bank_mask:0xf bound_ctrl:1
	;; [unrolled: 3-line block ×9, first 2 shown]
	v_sub_f32_dpp v0, v21, v21 row_ror:8 row_mask:0xf bank_mask:0xf bound_ctrl:1
	v_cndmask_b32_e32 v13, v0, v13, vcc
	v_pk_mul_f32 v[18:19], v[2:3], s[4:5] op_sel_hi:[1,0]
	v_sub_f32_dpp v0, v14, v14 row_ror:8 row_mask:0xf bank_mask:0xf bound_ctrl:1
	v_add_f32_dpp v14, v14, v14 row_ror:8 row_mask:0xf bank_mask:0xf bound_ctrl:1
	v_cndmask_b32_e32 v14, v0, v14, vcc
	v_sub_f32_dpp v0, v15, v15 row_ror:8 row_mask:0xf bank_mask:0xf bound_ctrl:1
	v_add_f32_dpp v15, v15, v15 row_ror:8 row_mask:0xf bank_mask:0xf bound_ctrl:1
	v_cndmask_b32_e32 v15, v0, v15, vcc
	v_sub_f32_dpp v0, v22, v22 row_ror:8 row_mask:0xf bank_mask:0xf bound_ctrl:1
	v_cndmask_b32_e32 v16, v0, v16, vcc
	v_pk_mul_f32 v[2:3], v[4:5], s[4:5] op_sel_hi:[1,0]
	v_sub_f32_dpp v0, v23, v23 row_ror:8 row_mask:0xf bank_mask:0xf bound_ctrl:1
	v_pk_mul_f32 v[6:7], v[6:7], s[4:5] op_sel_hi:[1,0]
	v_pk_mul_f32 v[4:5], v[8:9], s[4:5] op_sel_hi:[1,0]
	s_mov_b32 s5, 0x7060302
	v_cndmask_b32_e32 v17, v0, v17, vcc
	v_perm_b32 v5, v5, v4, s5
	v_perm_b32 v4, v7, v6, s5
	;; [unrolled: 1-line block ×4, first 2 shown]
	buffer_store_dwordx4 v[2:5], v1, s[0:3], 0 offen
	v_pk_mul_f32 v[6:7], v[10:11], s[4:5] op_sel_hi:[1,0]
	v_pk_mul_f32 v[2:3], v[12:13], s[4:5] op_sel_hi:[1,0]
	;; [unrolled: 1-line block ×4, first 2 shown]
	v_perm_b32 v5, v5, v4, s5
	v_perm_b32 v4, v9, v8, s5
	;; [unrolled: 1-line block ×4, first 2 shown]
	;;#ASMSTART
	s_nop 0
	;;#ASMEND
	buffer_store_dwordx4 v[2:5], v1, s[0:3], 16 offen
	;;#ASMSTART
	s_nop 0
	;;#ASMEND
	s_endpgm
	.section	.rodata,"a",@progbits
	.p2align	6, 0x0
	.amdhsa_kernel _ZN5aiter50hadamard_rotate_activation_fp4quant_inplace_kernelItLi256ELb0ELi16EEEvPT_PKS1_iii
		.amdhsa_group_segment_fixed_size 0
		.amdhsa_private_segment_fixed_size 0
		.amdhsa_kernarg_size 28
		.amdhsa_user_sgpr_count 6
		.amdhsa_user_sgpr_private_segment_buffer 1
		.amdhsa_user_sgpr_dispatch_ptr 0
		.amdhsa_user_sgpr_queue_ptr 0
		.amdhsa_user_sgpr_kernarg_segment_ptr 1
		.amdhsa_user_sgpr_dispatch_id 0
		.amdhsa_user_sgpr_flat_scratch_init 0
		.amdhsa_user_sgpr_kernarg_preload_length 0
		.amdhsa_user_sgpr_kernarg_preload_offset 0
		.amdhsa_user_sgpr_private_segment_size 0
		.amdhsa_uses_dynamic_stack 0
		.amdhsa_system_sgpr_private_segment_wavefront_offset 0
		.amdhsa_system_sgpr_workgroup_id_x 1
		.amdhsa_system_sgpr_workgroup_id_y 0
		.amdhsa_system_sgpr_workgroup_id_z 0
		.amdhsa_system_sgpr_workgroup_info 0
		.amdhsa_system_vgpr_workitem_id 0
		.amdhsa_next_free_vgpr 42
		.amdhsa_next_free_sgpr 12
		.amdhsa_accum_offset 44
		.amdhsa_reserve_vcc 1
		.amdhsa_reserve_flat_scratch 0
		.amdhsa_float_round_mode_32 0
		.amdhsa_float_round_mode_16_64 0
		.amdhsa_float_denorm_mode_32 3
		.amdhsa_float_denorm_mode_16_64 3
		.amdhsa_dx10_clamp 1
		.amdhsa_ieee_mode 1
		.amdhsa_fp16_overflow 0
		.amdhsa_tg_split 0
		.amdhsa_exception_fp_ieee_invalid_op 0
		.amdhsa_exception_fp_denorm_src 0
		.amdhsa_exception_fp_ieee_div_zero 0
		.amdhsa_exception_fp_ieee_overflow 0
		.amdhsa_exception_fp_ieee_underflow 0
		.amdhsa_exception_fp_ieee_inexact 0
		.amdhsa_exception_int_div_zero 0
	.end_amdhsa_kernel
	.section	.text._ZN5aiter50hadamard_rotate_activation_fp4quant_inplace_kernelItLi256ELb0ELi16EEEvPT_PKS1_iii,"axG",@progbits,_ZN5aiter50hadamard_rotate_activation_fp4quant_inplace_kernelItLi256ELb0ELi16EEEvPT_PKS1_iii,comdat
.Lfunc_end12:
	.size	_ZN5aiter50hadamard_rotate_activation_fp4quant_inplace_kernelItLi256ELb0ELi16EEEvPT_PKS1_iii, .Lfunc_end12-_ZN5aiter50hadamard_rotate_activation_fp4quant_inplace_kernelItLi256ELb0ELi16EEEvPT_PKS1_iii
                                        ; -- End function
	.section	.AMDGPU.csdata,"",@progbits
; Kernel info:
; codeLenInByte = 2396
; NumSgprs: 16
; NumVgprs: 42
; NumAgprs: 0
; TotalNumVgprs: 42
; ScratchSize: 0
; MemoryBound: 0
; FloatMode: 240
; IeeeMode: 1
; LDSByteSize: 0 bytes/workgroup (compile time only)
; SGPRBlocks: 1
; VGPRBlocks: 5
; NumSGPRsForWavesPerEU: 16
; NumVGPRsForWavesPerEU: 42
; AccumOffset: 44
; Occupancy: 8
; WaveLimiterHint : 0
; COMPUTE_PGM_RSRC2:SCRATCH_EN: 0
; COMPUTE_PGM_RSRC2:USER_SGPR: 6
; COMPUTE_PGM_RSRC2:TRAP_HANDLER: 0
; COMPUTE_PGM_RSRC2:TGID_X_EN: 1
; COMPUTE_PGM_RSRC2:TGID_Y_EN: 0
; COMPUTE_PGM_RSRC2:TGID_Z_EN: 0
; COMPUTE_PGM_RSRC2:TIDIG_COMP_CNT: 0
; COMPUTE_PGM_RSRC3_GFX90A:ACCUM_OFFSET: 10
; COMPUTE_PGM_RSRC3_GFX90A:TG_SPLIT: 0
	.section	.text._ZN5aiter50hadamard_rotate_activation_fp4quant_inplace_kernelIDF16_Li512ELb0ELi16EEEvPT_PKS1_iii,"axG",@progbits,_ZN5aiter50hadamard_rotate_activation_fp4quant_inplace_kernelIDF16_Li512ELb0ELi16EEEvPT_PKS1_iii,comdat
	.protected	_ZN5aiter50hadamard_rotate_activation_fp4quant_inplace_kernelIDF16_Li512ELb0ELi16EEEvPT_PKS1_iii ; -- Begin function _ZN5aiter50hadamard_rotate_activation_fp4quant_inplace_kernelIDF16_Li512ELb0ELi16EEEvPT_PKS1_iii
	.globl	_ZN5aiter50hadamard_rotate_activation_fp4quant_inplace_kernelIDF16_Li512ELb0ELi16EEEvPT_PKS1_iii
	.p2align	8
	.type	_ZN5aiter50hadamard_rotate_activation_fp4quant_inplace_kernelIDF16_Li512ELb0ELi16EEEvPT_PKS1_iii,@function
_ZN5aiter50hadamard_rotate_activation_fp4quant_inplace_kernelIDF16_Li512ELb0ELi16EEEvPT_PKS1_iii: ; @_ZN5aiter50hadamard_rotate_activation_fp4quant_inplace_kernelIDF16_Li512ELb0ELi16EEEvPT_PKS1_iii
; %bb.0:
	s_load_dwordx2 s[0:1], s[4:5], 0x10
	s_load_dwordx4 s[8:11], s[4:5], 0x0
	s_lshl_b32 s2, s6, 1
	v_lshlrev_b32_e32 v1, 5, v0
	s_waitcnt lgkmcnt(0)
	s_sub_i32 s3, s0, s2
	s_cmp_lt_u32 s0, s2
	s_cselect_b32 s6, s3, 2
	s_mul_i32 s2, s2, s1
	s_mov_b32 s3, 0
	s_lshl_b64 s[4:5], s[2:3], 1
	s_add_u32 s0, s10, s4
	s_addc_u32 s3, s11, s5
	s_mul_i32 s1, s1, s6
	s_lshl_b32 s2, s1, 1
	s_and_b32 s1, s3, 0xffff
	s_mov_b32 s3, 0x20000
	buffer_load_dwordx4 v[2:5], v1, s[0:3], 0 offen
	buffer_load_dwordx4 v[6:9], v1, s[0:3], 16 offen
	s_add_u32 s0, s8, s4
	s_mov_b32 s4, 0x3d3504f3
	s_addc_u32 s1, s9, s5
	s_lshl_b32 s2, s6, 10
	s_and_b32 s1, s1, 0xffff
	s_waitcnt vmcnt(1)
	v_cvt_f32_f16_e32 v11, v3
	v_cvt_f32_f16_sdwa v10, v2 dst_sel:DWORD dst_unused:UNUSED_PAD src0_sel:WORD_1
	v_cvt_f32_f16_e32 v2, v2
	v_cvt_f32_f16_sdwa v3, v3 dst_sel:DWORD dst_unused:UNUSED_PAD src0_sel:WORD_1
	v_cvt_f32_f16_e32 v13, v5
	v_cvt_f32_f16_sdwa v12, v4 dst_sel:DWORD dst_unused:UNUSED_PAD src0_sel:WORD_1
	v_cvt_f32_f16_e32 v4, v4
	v_cvt_f32_f16_sdwa v5, v5 dst_sel:DWORD dst_unused:UNUSED_PAD src0_sel:WORD_1
	s_waitcnt vmcnt(0)
	v_cvt_f32_f16_e32 v15, v7
	v_cvt_f32_f16_sdwa v14, v6 dst_sel:DWORD dst_unused:UNUSED_PAD src0_sel:WORD_1
	v_cvt_f32_f16_e32 v6, v6
	v_cvt_f32_f16_sdwa v7, v7 dst_sel:DWORD dst_unused:UNUSED_PAD src0_sel:WORD_1
	;; [unrolled: 2-line block ×4, first 2 shown]
	v_mov_b32_e32 v18, v11
	v_mov_b32_e32 v19, v2
	v_mov_b32_e32 v20, v3
	v_mov_b32_e32 v21, v10
	v_pk_add_f32 v[22:23], v[10:11], v[2:3]
	v_pk_add_f32 v[2:3], v[10:11], v[2:3] neg_lo:[0,1] neg_hi:[0,1]
	v_mov_b32_e32 v10, v13
	v_mov_b32_e32 v11, v4
	v_mov_b32_e32 v24, v5
	v_mov_b32_e32 v25, v12
	v_pk_add_f32 v[26:27], v[12:13], v[4:5]
	v_pk_add_f32 v[4:5], v[12:13], v[4:5] neg_lo:[0,1] neg_hi:[0,1]
	;; [unrolled: 6-line block ×4, first 2 shown]
	v_pk_add_f32 v[16:17], v[18:19], v[20:21]
	v_pk_add_f32 v[18:19], v[18:19], v[20:21] neg_lo:[0,1] neg_hi:[0,1]
	v_pk_add_f32 v[20:21], v[10:11], v[24:25]
	v_pk_add_f32 v[10:11], v[10:11], v[24:25] neg_lo:[0,1] neg_hi:[0,1]
	;; [unrolled: 2-line block ×4, first 2 shown]
	v_mov_b32_e32 v23, v3
	v_mov_b32_e32 v27, v5
	;; [unrolled: 1-line block ×8, first 2 shown]
	v_pk_add_f32 v[32:33], v[22:23], v[16:17]
	v_pk_add_f32 v[36:37], v[26:27], v[20:21]
	;; [unrolled: 1-line block ×4, first 2 shown]
	v_mov_b32_e32 v23, v19
	v_mov_b32_e32 v17, v3
	;; [unrolled: 1-line block ×8, first 2 shown]
	v_pk_add_f32 v[2:3], v[32:33], v[36:37]
	v_pk_add_f32 v[4:5], v[38:39], v[40:41]
	v_pk_add_f32 v[6:7], v[22:23], v[16:17] neg_lo:[0,1] neg_hi:[0,1]
	v_pk_add_f32 v[8:9], v[26:27], v[20:21] neg_lo:[0,1] neg_hi:[0,1]
	;; [unrolled: 1-line block ×4, first 2 shown]
	v_pk_add_f32 v[18:19], v[2:3], v[4:5]
	v_pk_add_f32 v[2:3], v[2:3], v[4:5] neg_lo:[0,1] neg_hi:[0,1]
	v_pk_add_f32 v[4:5], v[6:7], v[8:9]
	v_pk_add_f32 v[6:7], v[6:7], v[8:9] neg_lo:[0,1] neg_hi:[0,1]
	v_pk_add_f32 v[8:9], v[10:11], v[12:13] neg_lo:[0,1] neg_hi:[0,1]
	v_pk_add_f32 v[20:21], v[10:11], v[12:13]
	v_pk_add_f32 v[10:11], v[6:7], v[8:9]
	v_pk_add_f32 v[6:7], v[6:7], v[8:9] neg_lo:[0,1] neg_hi:[0,1]
	v_and_b32_e32 v8, 1, v0
	v_sub_f32_dpp v9, v18, v18 quad_perm:[1,0,3,2] row_mask:0xf bank_mask:0xf bound_ctrl:1
	v_add_f32_dpp v12, v18, v18 quad_perm:[1,0,3,2] row_mask:0xf bank_mask:0xf bound_ctrl:1
	v_cmp_eq_u32_e32 vcc, 0, v8
	v_pk_add_f32 v[22:23], v[4:5], v[20:21]
	v_cndmask_b32_e32 v8, v9, v12, vcc
	v_sub_f32_dpp v9, v19, v19 quad_perm:[1,0,3,2] row_mask:0xf bank_mask:0xf bound_ctrl:1
	v_add_f32_dpp v12, v19, v19 quad_perm:[1,0,3,2] row_mask:0xf bank_mask:0xf bound_ctrl:1
	v_pk_add_f32 v[14:15], v[32:33], v[36:37] neg_lo:[0,1] neg_hi:[0,1]
	v_pk_add_f32 v[16:17], v[38:39], v[40:41] neg_lo:[0,1] neg_hi:[0,1]
	v_cndmask_b32_e32 v9, v9, v12, vcc
	v_sub_f32_dpp v12, v22, v22 quad_perm:[1,0,3,2] row_mask:0xf bank_mask:0xf bound_ctrl:1
	v_add_f32_dpp v13, v22, v22 quad_perm:[1,0,3,2] row_mask:0xf bank_mask:0xf bound_ctrl:1
	v_pk_add_f32 v[4:5], v[4:5], v[20:21] neg_lo:[0,1] neg_hi:[0,1]
	v_pk_add_f32 v[20:21], v[14:15], v[16:17]
	v_pk_add_f32 v[14:15], v[14:15], v[16:17] neg_lo:[0,1] neg_hi:[0,1]
	v_cndmask_b32_e32 v12, v12, v13, vcc
	v_sub_f32_dpp v13, v23, v23 quad_perm:[1,0,3,2] row_mask:0xf bank_mask:0xf bound_ctrl:1
	v_add_f32_dpp v16, v23, v23 quad_perm:[1,0,3,2] row_mask:0xf bank_mask:0xf bound_ctrl:1
	v_cndmask_b32_e32 v13, v13, v16, vcc
	v_add_f32_dpp v17, v20, v20 quad_perm:[1,0,3,2] row_mask:0xf bank_mask:0xf bound_ctrl:1
	v_sub_f32_dpp v16, v20, v20 quad_perm:[1,0,3,2] row_mask:0xf bank_mask:0xf bound_ctrl:1
	v_cndmask_b32_e32 v16, v16, v17, vcc
	v_sub_f32_dpp v17, v21, v21 quad_perm:[1,0,3,2] row_mask:0xf bank_mask:0xf bound_ctrl:1
	v_add_f32_dpp v18, v21, v21 quad_perm:[1,0,3,2] row_mask:0xf bank_mask:0xf bound_ctrl:1
	v_cndmask_b32_e32 v17, v17, v18, vcc
	v_sub_f32_dpp v19, v8, v8 quad_perm:[2,3,0,1] row_mask:0xf bank_mask:0xf bound_ctrl:1
	v_sub_f32_dpp v18, v10, v10 quad_perm:[1,0,3,2] row_mask:0xf bank_mask:0xf bound_ctrl:1
	v_add_f32_dpp v10, v10, v10 quad_perm:[1,0,3,2] row_mask:0xf bank_mask:0xf bound_ctrl:1
	v_cndmask_b32_e32 v10, v18, v10, vcc
	v_sub_f32_dpp v18, v11, v11 quad_perm:[1,0,3,2] row_mask:0xf bank_mask:0xf bound_ctrl:1
	v_add_f32_dpp v11, v11, v11 quad_perm:[1,0,3,2] row_mask:0xf bank_mask:0xf bound_ctrl:1
	v_cndmask_b32_e32 v11, v18, v11, vcc
	;; [unrolled: 3-line block ×10, first 2 shown]
	v_and_b32_e32 v18, 2, v0
	v_cmp_eq_u32_e32 vcc, 0, v18
	v_add_f32_dpp v8, v8, v8 quad_perm:[2,3,0,1] row_mask:0xf bank_mask:0xf bound_ctrl:1
	v_sub_f32_dpp v18, v9, v9 quad_perm:[2,3,0,1] row_mask:0xf bank_mask:0xf bound_ctrl:1
	v_add_f32_dpp v9, v9, v9 quad_perm:[2,3,0,1] row_mask:0xf bank_mask:0xf bound_ctrl:1
	v_cndmask_b32_e32 v9, v18, v9, vcc
	v_sub_f32_dpp v18, v12, v12 quad_perm:[2,3,0,1] row_mask:0xf bank_mask:0xf bound_ctrl:1
	v_add_f32_dpp v12, v12, v12 quad_perm:[2,3,0,1] row_mask:0xf bank_mask:0xf bound_ctrl:1
	v_cndmask_b32_e32 v12, v18, v12, vcc
	;; [unrolled: 3-line block ×14, first 2 shown]
	v_cndmask_b32_e32 v6, v18, v6, vcc
	v_sub_f32_dpp v18, v7, v7 quad_perm:[2,3,0,1] row_mask:0xf bank_mask:0xf bound_ctrl:1
	v_add_f32_dpp v7, v7, v7 quad_perm:[2,3,0,1] row_mask:0xf bank_mask:0xf bound_ctrl:1
	v_cndmask_b32_e32 v7, v18, v7, vcc
	v_mov_b32_dpp v18, v8 row_shl:4 row_mask:0xf bank_mask:0x5 bound_ctrl:1
	v_and_b32_e32 v19, 4, v0
	v_cmp_eq_u32_e32 vcc, 0, v19
	v_mov_b32_dpp v18, v8 row_shr:4 row_mask:0xf bank_mask:0xa bound_ctrl:1
	v_sub_f32_e32 v20, v18, v8
	v_add_f32_e32 v8, v8, v18
	v_mov_b32_dpp v18, v9 row_shl:4 row_mask:0xf bank_mask:0x5 bound_ctrl:1
	v_cndmask_b32_e32 v8, v20, v8, vcc
	s_nop 0
	v_mov_b32_dpp v18, v9 row_shr:4 row_mask:0xf bank_mask:0xa bound_ctrl:1
	v_sub_f32_e32 v19, v18, v9
	v_add_f32_e32 v9, v9, v18
	v_mov_b32_dpp v18, v12 row_shl:4 row_mask:0xf bank_mask:0x5 bound_ctrl:1
	v_cndmask_b32_e32 v9, v19, v9, vcc
	s_nop 0
	;; [unrolled: 6-line block ×15, first 2 shown]
	v_mov_b32_dpp v18, v7 row_shr:4 row_mask:0xf bank_mask:0xa bound_ctrl:1
	v_sub_f32_e32 v19, v18, v7
	v_add_f32_e32 v7, v7, v18
	v_and_b32_e32 v18, 8, v0
	v_cndmask_b32_e32 v7, v19, v7, vcc
	v_cmp_eq_u32_e32 vcc, 0, v18
	v_sub_f32_dpp v18, v9, v9 row_ror:8 row_mask:0xf bank_mask:0xf bound_ctrl:1
	v_add_f32_dpp v9, v9, v9 row_ror:8 row_mask:0xf bank_mask:0xf bound_ctrl:1
	v_cndmask_b32_e32 v9, v18, v9, vcc
	v_sub_f32_dpp v18, v12, v12 row_ror:8 row_mask:0xf bank_mask:0xf bound_ctrl:1
	v_add_f32_dpp v12, v12, v12 row_ror:8 row_mask:0xf bank_mask:0xf bound_ctrl:1
	v_cndmask_b32_e32 v12, v18, v12, vcc
	;; [unrolled: 3-line block ×7, first 2 shown]
	v_sub_f32_dpp v18, v2, v2 row_ror:8 row_mask:0xf bank_mask:0xf bound_ctrl:1
	v_add_f32_dpp v2, v2, v2 row_ror:8 row_mask:0xf bank_mask:0xf bound_ctrl:1
	v_sub_f32_dpp v19, v8, v8 row_ror:8 row_mask:0xf bank_mask:0xf bound_ctrl:1
	v_add_f32_dpp v8, v8, v8 row_ror:8 row_mask:0xf bank_mask:0xf bound_ctrl:1
	v_cndmask_b32_e32 v18, v18, v2, vcc
	v_sub_f32_dpp v2, v3, v3 row_ror:8 row_mask:0xf bank_mask:0xf bound_ctrl:1
	v_add_f32_dpp v3, v3, v3 row_ror:8 row_mask:0xf bank_mask:0xf bound_ctrl:1
	v_cndmask_b32_e32 v8, v19, v8, vcc
	v_cndmask_b32_e32 v19, v2, v3, vcc
	v_sub_f32_dpp v2, v4, v4 row_ror:8 row_mask:0xf bank_mask:0xf bound_ctrl:1
	v_add_f32_dpp v3, v4, v4 row_ror:8 row_mask:0xf bank_mask:0xf bound_ctrl:1
	v_cndmask_b32_e32 v20, v2, v3, vcc
	v_sub_f32_dpp v2, v5, v5 row_ror:8 row_mask:0xf bank_mask:0xf bound_ctrl:1
	v_add_f32_dpp v3, v5, v5 row_ror:8 row_mask:0xf bank_mask:0xf bound_ctrl:1
	;; [unrolled: 3-line block ×5, first 2 shown]
	v_cndmask_b32_e32 v22, v2, v3, vcc
	v_mbcnt_lo_u32_b32 v2, -1, 0
	v_mbcnt_hi_u32_b32 v2, -1, v2
	v_lshlrev_b32_e32 v2, 2, v2
	v_xor_b32_e32 v23, 64, v2
	ds_bpermute_b32 v2, v23, v8
	v_sub_f32_dpp v3, v7, v7 row_ror:8 row_mask:0xf bank_mask:0xf bound_ctrl:1
	v_add_f32_dpp v4, v7, v7 row_ror:8 row_mask:0xf bank_mask:0xf bound_ctrl:1
	v_cndmask_b32_e32 v24, v3, v4, vcc
	ds_bpermute_b32 v4, v23, v9
	v_and_b32_e32 v0, 16, v0
	s_waitcnt lgkmcnt(1)
	v_sub_f32_e32 v3, v2, v8
	v_add_f32_e32 v2, v8, v2
	v_cmp_eq_u32_e32 vcc, 0, v0
	v_cndmask_b32_e32 v0, v3, v2, vcc
	ds_bpermute_b32 v3, v23, v12
	s_waitcnt lgkmcnt(1)
	v_sub_f32_e32 v2, v4, v9
	v_add_f32_e32 v4, v9, v4
	v_cndmask_b32_e32 v2, v2, v4, vcc
	ds_bpermute_b32 v4, v23, v13
	s_waitcnt lgkmcnt(1)
	v_sub_f32_e32 v5, v3, v12
	v_add_f32_e32 v3, v12, v3
	;; [unrolled: 5-line block ×13, first 2 shown]
	ds_bpermute_b32 v15, v23, v24
	v_cndmask_b32_e32 v12, v14, v12, vcc
	s_waitcnt lgkmcnt(1)
	v_sub_f32_e32 v14, v13, v22
	v_add_f32_e32 v13, v22, v13
	v_cndmask_b32_e32 v13, v14, v13, vcc
	s_waitcnt lgkmcnt(0)
	v_sub_f32_e32 v14, v15, v24
	v_add_f32_e32 v15, v24, v15
	v_pk_mul_f32 v[2:3], v[2:3], s[4:5] op_sel_hi:[1,0]
	v_pk_mul_f32 v[4:5], v[4:5], s[4:5] op_sel_hi:[1,0]
	;; [unrolled: 1-line block ×3, first 2 shown]
	v_cndmask_b32_e32 v14, v14, v15, vcc
	v_cvt_f16_f32_e32 v3, v3
	v_cvt_f16_f32_e32 v15, v5
	;; [unrolled: 1-line block ×6, first 2 shown]
	v_fma_mixlo_f16 v0, v0, s4, 0
	v_pack_b32_f16 v4, v15, v6
	v_pack_b32_f16 v3, v3, v18
	;; [unrolled: 1-line block ×3, first 2 shown]
	v_fma_mixhi_f16 v5, v16, s4, 0
	buffer_store_dwordx4 v[2:5], v1, s[0:3], 0 offen
	v_pk_mul_f32 v[6:7], v[12:13], s[4:5] op_sel_hi:[1,0]
	v_pk_mul_f32 v[2:3], v[8:9], s[4:5] op_sel_hi:[1,0]
	;; [unrolled: 1-line block ×3, first 2 shown]
	v_cvt_f16_f32_e32 v3, v3
	v_cvt_f16_f32_e32 v8, v5
	;; [unrolled: 1-line block ×6, first 2 shown]
	v_fma_mixlo_f16 v0, v17, s4, 0
	v_pack_b32_f16 v4, v8, v6
	v_pack_b32_f16 v3, v3, v9
	;; [unrolled: 1-line block ×3, first 2 shown]
	v_fma_mixhi_f16 v5, v14, s4, 0
	;;#ASMSTART
	s_nop 0
	;;#ASMEND
	buffer_store_dwordx4 v[2:5], v1, s[0:3], 16 offen
	;;#ASMSTART
	s_nop 0
	;;#ASMEND
	s_endpgm
	.section	.rodata,"a",@progbits
	.p2align	6, 0x0
	.amdhsa_kernel _ZN5aiter50hadamard_rotate_activation_fp4quant_inplace_kernelIDF16_Li512ELb0ELi16EEEvPT_PKS1_iii
		.amdhsa_group_segment_fixed_size 0
		.amdhsa_private_segment_fixed_size 0
		.amdhsa_kernarg_size 28
		.amdhsa_user_sgpr_count 6
		.amdhsa_user_sgpr_private_segment_buffer 1
		.amdhsa_user_sgpr_dispatch_ptr 0
		.amdhsa_user_sgpr_queue_ptr 0
		.amdhsa_user_sgpr_kernarg_segment_ptr 1
		.amdhsa_user_sgpr_dispatch_id 0
		.amdhsa_user_sgpr_flat_scratch_init 0
		.amdhsa_user_sgpr_kernarg_preload_length 0
		.amdhsa_user_sgpr_kernarg_preload_offset 0
		.amdhsa_user_sgpr_private_segment_size 0
		.amdhsa_uses_dynamic_stack 0
		.amdhsa_system_sgpr_private_segment_wavefront_offset 0
		.amdhsa_system_sgpr_workgroup_id_x 1
		.amdhsa_system_sgpr_workgroup_id_y 0
		.amdhsa_system_sgpr_workgroup_id_z 0
		.amdhsa_system_sgpr_workgroup_info 0
		.amdhsa_system_vgpr_workitem_id 0
		.amdhsa_next_free_vgpr 42
		.amdhsa_next_free_sgpr 12
		.amdhsa_accum_offset 44
		.amdhsa_reserve_vcc 1
		.amdhsa_reserve_flat_scratch 0
		.amdhsa_float_round_mode_32 0
		.amdhsa_float_round_mode_16_64 0
		.amdhsa_float_denorm_mode_32 3
		.amdhsa_float_denorm_mode_16_64 3
		.amdhsa_dx10_clamp 1
		.amdhsa_ieee_mode 1
		.amdhsa_fp16_overflow 0
		.amdhsa_tg_split 0
		.amdhsa_exception_fp_ieee_invalid_op 0
		.amdhsa_exception_fp_denorm_src 0
		.amdhsa_exception_fp_ieee_div_zero 0
		.amdhsa_exception_fp_ieee_overflow 0
		.amdhsa_exception_fp_ieee_underflow 0
		.amdhsa_exception_fp_ieee_inexact 0
		.amdhsa_exception_int_div_zero 0
	.end_amdhsa_kernel
	.section	.text._ZN5aiter50hadamard_rotate_activation_fp4quant_inplace_kernelIDF16_Li512ELb0ELi16EEEvPT_PKS1_iii,"axG",@progbits,_ZN5aiter50hadamard_rotate_activation_fp4quant_inplace_kernelIDF16_Li512ELb0ELi16EEEvPT_PKS1_iii,comdat
.Lfunc_end13:
	.size	_ZN5aiter50hadamard_rotate_activation_fp4quant_inplace_kernelIDF16_Li512ELb0ELi16EEEvPT_PKS1_iii, .Lfunc_end13-_ZN5aiter50hadamard_rotate_activation_fp4quant_inplace_kernelIDF16_Li512ELb0ELi16EEEvPT_PKS1_iii
                                        ; -- End function
	.section	.AMDGPU.csdata,"",@progbits
; Kernel info:
; codeLenInByte = 2808
; NumSgprs: 16
; NumVgprs: 42
; NumAgprs: 0
; TotalNumVgprs: 42
; ScratchSize: 0
; MemoryBound: 0
; FloatMode: 240
; IeeeMode: 1
; LDSByteSize: 0 bytes/workgroup (compile time only)
; SGPRBlocks: 1
; VGPRBlocks: 5
; NumSGPRsForWavesPerEU: 16
; NumVGPRsForWavesPerEU: 42
; AccumOffset: 44
; Occupancy: 8
; WaveLimiterHint : 0
; COMPUTE_PGM_RSRC2:SCRATCH_EN: 0
; COMPUTE_PGM_RSRC2:USER_SGPR: 6
; COMPUTE_PGM_RSRC2:TRAP_HANDLER: 0
; COMPUTE_PGM_RSRC2:TGID_X_EN: 1
; COMPUTE_PGM_RSRC2:TGID_Y_EN: 0
; COMPUTE_PGM_RSRC2:TGID_Z_EN: 0
; COMPUTE_PGM_RSRC2:TIDIG_COMP_CNT: 0
; COMPUTE_PGM_RSRC3_GFX90A:ACCUM_OFFSET: 10
; COMPUTE_PGM_RSRC3_GFX90A:TG_SPLIT: 0
	.section	.text._ZN5aiter50hadamard_rotate_activation_fp4quant_inplace_kernelItLi512ELb0ELi16EEEvPT_PKS1_iii,"axG",@progbits,_ZN5aiter50hadamard_rotate_activation_fp4quant_inplace_kernelItLi512ELb0ELi16EEEvPT_PKS1_iii,comdat
	.protected	_ZN5aiter50hadamard_rotate_activation_fp4quant_inplace_kernelItLi512ELb0ELi16EEEvPT_PKS1_iii ; -- Begin function _ZN5aiter50hadamard_rotate_activation_fp4quant_inplace_kernelItLi512ELb0ELi16EEEvPT_PKS1_iii
	.globl	_ZN5aiter50hadamard_rotate_activation_fp4quant_inplace_kernelItLi512ELb0ELi16EEEvPT_PKS1_iii
	.p2align	8
	.type	_ZN5aiter50hadamard_rotate_activation_fp4quant_inplace_kernelItLi512ELb0ELi16EEEvPT_PKS1_iii,@function
_ZN5aiter50hadamard_rotate_activation_fp4quant_inplace_kernelItLi512ELb0ELi16EEEvPT_PKS1_iii: ; @_ZN5aiter50hadamard_rotate_activation_fp4quant_inplace_kernelItLi512ELb0ELi16EEEvPT_PKS1_iii
; %bb.0:
	s_load_dwordx2 s[0:1], s[4:5], 0x10
	s_load_dwordx4 s[8:11], s[4:5], 0x0
	s_lshl_b32 s2, s6, 1
	v_lshlrev_b32_e32 v1, 5, v0
	s_waitcnt lgkmcnt(0)
	s_sub_i32 s3, s0, s2
	s_cmp_lt_u32 s0, s2
	s_cselect_b32 s6, s3, 2
	s_mul_i32 s2, s2, s1
	s_mov_b32 s3, 0
	s_lshl_b64 s[4:5], s[2:3], 1
	s_add_u32 s0, s10, s4
	s_addc_u32 s3, s11, s5
	s_mul_i32 s1, s1, s6
	s_lshl_b32 s2, s1, 1
	s_and_b32 s1, s3, 0xffff
	s_mov_b32 s3, 0x20000
	buffer_load_dwordx4 v[2:5], v1, s[0:3], 0 offen
	buffer_load_dwordx4 v[6:9], v1, s[0:3], 16 offen
	s_add_u32 s0, s8, s4
	s_mov_b32 s4, 0x3d3504f3
	s_addc_u32 s1, s9, s5
	s_lshl_b32 s2, s6, 10
	s_and_b32 s1, s1, 0xffff
	s_waitcnt vmcnt(1)
	v_cvt_f32_u32_sdwa v11, v3 dst_sel:DWORD dst_unused:UNUSED_PAD src0_sel:WORD_0
	v_cvt_f32_u32_sdwa v10, v2 dst_sel:DWORD dst_unused:UNUSED_PAD src0_sel:WORD_1
	v_cvt_f32_u32_sdwa v3, v3 dst_sel:DWORD dst_unused:UNUSED_PAD src0_sel:WORD_1
	v_cvt_f32_u32_sdwa v2, v2 dst_sel:DWORD dst_unused:UNUSED_PAD src0_sel:WORD_0
	v_cvt_f32_u32_sdwa v13, v5 dst_sel:DWORD dst_unused:UNUSED_PAD src0_sel:WORD_0
	v_cvt_f32_u32_sdwa v12, v4 dst_sel:DWORD dst_unused:UNUSED_PAD src0_sel:WORD_1
	v_cvt_f32_u32_sdwa v5, v5 dst_sel:DWORD dst_unused:UNUSED_PAD src0_sel:WORD_1
	v_cvt_f32_u32_sdwa v4, v4 dst_sel:DWORD dst_unused:UNUSED_PAD src0_sel:WORD_0
	s_waitcnt vmcnt(0)
	v_cvt_f32_u32_sdwa v15, v7 dst_sel:DWORD dst_unused:UNUSED_PAD src0_sel:WORD_0
	v_cvt_f32_u32_sdwa v14, v6 dst_sel:DWORD dst_unused:UNUSED_PAD src0_sel:WORD_1
	v_cvt_f32_u32_sdwa v7, v7 dst_sel:DWORD dst_unused:UNUSED_PAD src0_sel:WORD_1
	v_cvt_f32_u32_sdwa v6, v6 dst_sel:DWORD dst_unused:UNUSED_PAD src0_sel:WORD_0
	v_cvt_f32_u32_sdwa v17, v9 dst_sel:DWORD dst_unused:UNUSED_PAD src0_sel:WORD_0
	v_cvt_f32_u32_sdwa v16, v8 dst_sel:DWORD dst_unused:UNUSED_PAD src0_sel:WORD_1
	v_cvt_f32_u32_sdwa v9, v9 dst_sel:DWORD dst_unused:UNUSED_PAD src0_sel:WORD_1
	v_cvt_f32_u32_sdwa v8, v8 dst_sel:DWORD dst_unused:UNUSED_PAD src0_sel:WORD_0
	v_mov_b32_e32 v18, v11
	v_mov_b32_e32 v19, v2
	v_mov_b32_e32 v20, v3
	v_mov_b32_e32 v21, v10
	v_pk_add_f32 v[22:23], v[10:11], v[2:3]
	v_pk_add_f32 v[2:3], v[10:11], v[2:3] neg_lo:[0,1] neg_hi:[0,1]
	v_mov_b32_e32 v10, v13
	v_mov_b32_e32 v11, v4
	v_mov_b32_e32 v24, v5
	v_mov_b32_e32 v25, v12
	v_pk_add_f32 v[26:27], v[12:13], v[4:5]
	v_pk_add_f32 v[4:5], v[12:13], v[4:5] neg_lo:[0,1] neg_hi:[0,1]
	;; [unrolled: 6-line block ×4, first 2 shown]
	v_pk_add_f32 v[16:17], v[18:19], v[20:21]
	v_pk_add_f32 v[18:19], v[18:19], v[20:21] neg_lo:[0,1] neg_hi:[0,1]
	v_pk_add_f32 v[20:21], v[10:11], v[24:25]
	v_pk_add_f32 v[10:11], v[10:11], v[24:25] neg_lo:[0,1] neg_hi:[0,1]
	;; [unrolled: 2-line block ×4, first 2 shown]
	v_mov_b32_e32 v23, v3
	v_mov_b32_e32 v27, v5
	;; [unrolled: 1-line block ×8, first 2 shown]
	v_pk_add_f32 v[32:33], v[22:23], v[16:17]
	v_pk_add_f32 v[36:37], v[26:27], v[20:21]
	v_pk_add_f32 v[38:39], v[30:31], v[24:25]
	v_pk_add_f32 v[40:41], v[34:35], v[28:29]
	v_mov_b32_e32 v23, v19
	v_mov_b32_e32 v17, v3
	;; [unrolled: 1-line block ×8, first 2 shown]
	v_pk_add_f32 v[2:3], v[32:33], v[36:37]
	v_pk_add_f32 v[4:5], v[38:39], v[40:41]
	v_pk_add_f32 v[6:7], v[22:23], v[16:17] neg_lo:[0,1] neg_hi:[0,1]
	v_pk_add_f32 v[8:9], v[26:27], v[20:21] neg_lo:[0,1] neg_hi:[0,1]
	v_pk_add_f32 v[10:11], v[30:31], v[24:25] neg_lo:[0,1] neg_hi:[0,1]
	v_pk_add_f32 v[12:13], v[34:35], v[28:29] neg_lo:[0,1] neg_hi:[0,1]
	v_pk_add_f32 v[18:19], v[2:3], v[4:5]
	v_pk_add_f32 v[2:3], v[2:3], v[4:5] neg_lo:[0,1] neg_hi:[0,1]
	v_pk_add_f32 v[4:5], v[6:7], v[8:9]
	v_pk_add_f32 v[6:7], v[6:7], v[8:9] neg_lo:[0,1] neg_hi:[0,1]
	v_pk_add_f32 v[8:9], v[10:11], v[12:13] neg_lo:[0,1] neg_hi:[0,1]
	v_pk_add_f32 v[20:21], v[10:11], v[12:13]
	v_pk_add_f32 v[10:11], v[6:7], v[8:9]
	v_pk_add_f32 v[6:7], v[6:7], v[8:9] neg_lo:[0,1] neg_hi:[0,1]
	v_and_b32_e32 v8, 1, v0
	v_sub_f32_dpp v9, v18, v18 quad_perm:[1,0,3,2] row_mask:0xf bank_mask:0xf bound_ctrl:1
	v_add_f32_dpp v12, v18, v18 quad_perm:[1,0,3,2] row_mask:0xf bank_mask:0xf bound_ctrl:1
	v_cmp_eq_u32_e32 vcc, 0, v8
	v_pk_add_f32 v[22:23], v[4:5], v[20:21]
	v_cndmask_b32_e32 v8, v9, v12, vcc
	v_sub_f32_dpp v9, v19, v19 quad_perm:[1,0,3,2] row_mask:0xf bank_mask:0xf bound_ctrl:1
	v_add_f32_dpp v12, v19, v19 quad_perm:[1,0,3,2] row_mask:0xf bank_mask:0xf bound_ctrl:1
	v_pk_add_f32 v[14:15], v[32:33], v[36:37] neg_lo:[0,1] neg_hi:[0,1]
	v_pk_add_f32 v[16:17], v[38:39], v[40:41] neg_lo:[0,1] neg_hi:[0,1]
	v_cndmask_b32_e32 v9, v9, v12, vcc
	v_sub_f32_dpp v12, v22, v22 quad_perm:[1,0,3,2] row_mask:0xf bank_mask:0xf bound_ctrl:1
	v_add_f32_dpp v13, v22, v22 quad_perm:[1,0,3,2] row_mask:0xf bank_mask:0xf bound_ctrl:1
	v_pk_add_f32 v[4:5], v[4:5], v[20:21] neg_lo:[0,1] neg_hi:[0,1]
	v_pk_add_f32 v[20:21], v[14:15], v[16:17]
	v_pk_add_f32 v[14:15], v[14:15], v[16:17] neg_lo:[0,1] neg_hi:[0,1]
	v_cndmask_b32_e32 v12, v12, v13, vcc
	v_sub_f32_dpp v13, v23, v23 quad_perm:[1,0,3,2] row_mask:0xf bank_mask:0xf bound_ctrl:1
	v_add_f32_dpp v16, v23, v23 quad_perm:[1,0,3,2] row_mask:0xf bank_mask:0xf bound_ctrl:1
	v_cndmask_b32_e32 v13, v13, v16, vcc
	v_add_f32_dpp v17, v20, v20 quad_perm:[1,0,3,2] row_mask:0xf bank_mask:0xf bound_ctrl:1
	v_sub_f32_dpp v16, v20, v20 quad_perm:[1,0,3,2] row_mask:0xf bank_mask:0xf bound_ctrl:1
	v_cndmask_b32_e32 v16, v16, v17, vcc
	v_sub_f32_dpp v17, v21, v21 quad_perm:[1,0,3,2] row_mask:0xf bank_mask:0xf bound_ctrl:1
	v_add_f32_dpp v18, v21, v21 quad_perm:[1,0,3,2] row_mask:0xf bank_mask:0xf bound_ctrl:1
	v_cndmask_b32_e32 v17, v17, v18, vcc
	v_sub_f32_dpp v19, v8, v8 quad_perm:[2,3,0,1] row_mask:0xf bank_mask:0xf bound_ctrl:1
	v_sub_f32_dpp v18, v10, v10 quad_perm:[1,0,3,2] row_mask:0xf bank_mask:0xf bound_ctrl:1
	v_add_f32_dpp v10, v10, v10 quad_perm:[1,0,3,2] row_mask:0xf bank_mask:0xf bound_ctrl:1
	v_cndmask_b32_e32 v10, v18, v10, vcc
	v_sub_f32_dpp v18, v11, v11 quad_perm:[1,0,3,2] row_mask:0xf bank_mask:0xf bound_ctrl:1
	v_add_f32_dpp v11, v11, v11 quad_perm:[1,0,3,2] row_mask:0xf bank_mask:0xf bound_ctrl:1
	v_cndmask_b32_e32 v11, v18, v11, vcc
	;; [unrolled: 3-line block ×10, first 2 shown]
	v_and_b32_e32 v18, 2, v0
	v_cmp_eq_u32_e32 vcc, 0, v18
	v_add_f32_dpp v8, v8, v8 quad_perm:[2,3,0,1] row_mask:0xf bank_mask:0xf bound_ctrl:1
	v_sub_f32_dpp v18, v9, v9 quad_perm:[2,3,0,1] row_mask:0xf bank_mask:0xf bound_ctrl:1
	v_add_f32_dpp v9, v9, v9 quad_perm:[2,3,0,1] row_mask:0xf bank_mask:0xf bound_ctrl:1
	v_cndmask_b32_e32 v9, v18, v9, vcc
	v_sub_f32_dpp v18, v12, v12 quad_perm:[2,3,0,1] row_mask:0xf bank_mask:0xf bound_ctrl:1
	v_add_f32_dpp v12, v12, v12 quad_perm:[2,3,0,1] row_mask:0xf bank_mask:0xf bound_ctrl:1
	v_cndmask_b32_e32 v12, v18, v12, vcc
	;; [unrolled: 3-line block ×14, first 2 shown]
	v_cndmask_b32_e32 v6, v18, v6, vcc
	v_sub_f32_dpp v18, v7, v7 quad_perm:[2,3,0,1] row_mask:0xf bank_mask:0xf bound_ctrl:1
	v_add_f32_dpp v7, v7, v7 quad_perm:[2,3,0,1] row_mask:0xf bank_mask:0xf bound_ctrl:1
	v_cndmask_b32_e32 v7, v18, v7, vcc
	v_mov_b32_dpp v18, v8 row_shl:4 row_mask:0xf bank_mask:0x5 bound_ctrl:1
	v_and_b32_e32 v19, 4, v0
	v_cmp_eq_u32_e32 vcc, 0, v19
	v_mov_b32_dpp v18, v8 row_shr:4 row_mask:0xf bank_mask:0xa bound_ctrl:1
	v_sub_f32_e32 v20, v18, v8
	v_add_f32_e32 v8, v8, v18
	v_mov_b32_dpp v18, v9 row_shl:4 row_mask:0xf bank_mask:0x5 bound_ctrl:1
	v_cndmask_b32_e32 v8, v20, v8, vcc
	s_nop 0
	v_mov_b32_dpp v18, v9 row_shr:4 row_mask:0xf bank_mask:0xa bound_ctrl:1
	v_sub_f32_e32 v19, v18, v9
	v_add_f32_e32 v9, v9, v18
	v_mov_b32_dpp v18, v12 row_shl:4 row_mask:0xf bank_mask:0x5 bound_ctrl:1
	v_cndmask_b32_e32 v9, v19, v9, vcc
	s_nop 0
	;; [unrolled: 6-line block ×15, first 2 shown]
	v_mov_b32_dpp v18, v7 row_shr:4 row_mask:0xf bank_mask:0xa bound_ctrl:1
	v_sub_f32_e32 v19, v18, v7
	v_add_f32_e32 v7, v7, v18
	v_and_b32_e32 v18, 8, v0
	v_cndmask_b32_e32 v7, v19, v7, vcc
	v_cmp_eq_u32_e32 vcc, 0, v18
	v_sub_f32_dpp v18, v9, v9 row_ror:8 row_mask:0xf bank_mask:0xf bound_ctrl:1
	v_add_f32_dpp v9, v9, v9 row_ror:8 row_mask:0xf bank_mask:0xf bound_ctrl:1
	v_cndmask_b32_e32 v9, v18, v9, vcc
	v_sub_f32_dpp v18, v12, v12 row_ror:8 row_mask:0xf bank_mask:0xf bound_ctrl:1
	v_add_f32_dpp v12, v12, v12 row_ror:8 row_mask:0xf bank_mask:0xf bound_ctrl:1
	v_cndmask_b32_e32 v12, v18, v12, vcc
	;; [unrolled: 3-line block ×7, first 2 shown]
	v_sub_f32_dpp v18, v2, v2 row_ror:8 row_mask:0xf bank_mask:0xf bound_ctrl:1
	v_add_f32_dpp v2, v2, v2 row_ror:8 row_mask:0xf bank_mask:0xf bound_ctrl:1
	v_sub_f32_dpp v19, v8, v8 row_ror:8 row_mask:0xf bank_mask:0xf bound_ctrl:1
	v_add_f32_dpp v8, v8, v8 row_ror:8 row_mask:0xf bank_mask:0xf bound_ctrl:1
	v_cndmask_b32_e32 v18, v18, v2, vcc
	v_sub_f32_dpp v2, v3, v3 row_ror:8 row_mask:0xf bank_mask:0xf bound_ctrl:1
	v_add_f32_dpp v3, v3, v3 row_ror:8 row_mask:0xf bank_mask:0xf bound_ctrl:1
	v_cndmask_b32_e32 v8, v19, v8, vcc
	v_cndmask_b32_e32 v19, v2, v3, vcc
	v_sub_f32_dpp v2, v4, v4 row_ror:8 row_mask:0xf bank_mask:0xf bound_ctrl:1
	v_add_f32_dpp v3, v4, v4 row_ror:8 row_mask:0xf bank_mask:0xf bound_ctrl:1
	v_cndmask_b32_e32 v20, v2, v3, vcc
	v_sub_f32_dpp v2, v5, v5 row_ror:8 row_mask:0xf bank_mask:0xf bound_ctrl:1
	v_add_f32_dpp v3, v5, v5 row_ror:8 row_mask:0xf bank_mask:0xf bound_ctrl:1
	;; [unrolled: 3-line block ×5, first 2 shown]
	v_cndmask_b32_e32 v22, v2, v3, vcc
	v_mbcnt_lo_u32_b32 v2, -1, 0
	v_mbcnt_hi_u32_b32 v2, -1, v2
	v_lshlrev_b32_e32 v2, 2, v2
	v_xor_b32_e32 v23, 64, v2
	ds_bpermute_b32 v2, v23, v8
	v_sub_f32_dpp v3, v7, v7 row_ror:8 row_mask:0xf bank_mask:0xf bound_ctrl:1
	v_add_f32_dpp v4, v7, v7 row_ror:8 row_mask:0xf bank_mask:0xf bound_ctrl:1
	v_cndmask_b32_e32 v24, v3, v4, vcc
	v_and_b32_e32 v0, 16, v0
	ds_bpermute_b32 v4, v23, v9
	v_cmp_eq_u32_e32 vcc, 0, v0
	ds_bpermute_b32 v0, v23, v12
	s_waitcnt lgkmcnt(2)
	v_sub_f32_e32 v3, v2, v8
	v_add_f32_e32 v2, v8, v2
	v_cndmask_b32_e32 v2, v3, v2, vcc
	s_waitcnt lgkmcnt(1)
	v_sub_f32_e32 v3, v4, v9
	v_add_f32_e32 v4, v9, v4
	v_cndmask_b32_e32 v3, v3, v4, vcc
	ds_bpermute_b32 v5, v23, v13
	s_waitcnt lgkmcnt(1)
	v_sub_f32_e32 v4, v0, v12
	v_add_f32_e32 v0, v12, v0
	v_cndmask_b32_e32 v4, v4, v0, vcc
	ds_bpermute_b32 v0, v23, v16
	;; [unrolled: 5-line block ×12, first 2 shown]
	ds_bpermute_b32 v18, v23, v24
	s_waitcnt lgkmcnt(2)
	v_sub_f32_e32 v17, v16, v15
	v_add_f32_e32 v15, v15, v16
	v_cndmask_b32_e32 v15, v17, v15, vcc
	s_waitcnt lgkmcnt(1)
	v_sub_f32_e32 v16, v0, v22
	v_add_f32_e32 v0, v22, v0
	v_cndmask_b32_e32 v16, v16, v0, vcc
	s_waitcnt lgkmcnt(0)
	v_sub_f32_e32 v0, v18, v24
	v_add_f32_e32 v17, v24, v18
	v_pk_mul_f32 v[18:19], v[2:3], s[4:5] op_sel_hi:[1,0]
	v_pk_mul_f32 v[2:3], v[4:5], s[4:5] op_sel_hi:[1,0]
	;; [unrolled: 1-line block ×4, first 2 shown]
	s_mov_b32 s5, 0x7060302
	v_cndmask_b32_e32 v17, v0, v17, vcc
	v_perm_b32 v5, v5, v4, s5
	v_perm_b32 v4, v7, v6, s5
	;; [unrolled: 1-line block ×4, first 2 shown]
	buffer_store_dwordx4 v[2:5], v1, s[0:3], 0 offen
	v_pk_mul_f32 v[6:7], v[10:11], s[4:5] op_sel_hi:[1,0]
	v_pk_mul_f32 v[2:3], v[12:13], s[4:5] op_sel_hi:[1,0]
	;; [unrolled: 1-line block ×4, first 2 shown]
	v_perm_b32 v5, v5, v4, s5
	v_perm_b32 v4, v9, v8, s5
	;; [unrolled: 1-line block ×4, first 2 shown]
	;;#ASMSTART
	s_nop 0
	;;#ASMEND
	buffer_store_dwordx4 v[2:5], v1, s[0:3], 16 offen
	;;#ASMSTART
	s_nop 0
	;;#ASMEND
	s_endpgm
	.section	.rodata,"a",@progbits
	.p2align	6, 0x0
	.amdhsa_kernel _ZN5aiter50hadamard_rotate_activation_fp4quant_inplace_kernelItLi512ELb0ELi16EEEvPT_PKS1_iii
		.amdhsa_group_segment_fixed_size 0
		.amdhsa_private_segment_fixed_size 0
		.amdhsa_kernarg_size 28
		.amdhsa_user_sgpr_count 6
		.amdhsa_user_sgpr_private_segment_buffer 1
		.amdhsa_user_sgpr_dispatch_ptr 0
		.amdhsa_user_sgpr_queue_ptr 0
		.amdhsa_user_sgpr_kernarg_segment_ptr 1
		.amdhsa_user_sgpr_dispatch_id 0
		.amdhsa_user_sgpr_flat_scratch_init 0
		.amdhsa_user_sgpr_kernarg_preload_length 0
		.amdhsa_user_sgpr_kernarg_preload_offset 0
		.amdhsa_user_sgpr_private_segment_size 0
		.amdhsa_uses_dynamic_stack 0
		.amdhsa_system_sgpr_private_segment_wavefront_offset 0
		.amdhsa_system_sgpr_workgroup_id_x 1
		.amdhsa_system_sgpr_workgroup_id_y 0
		.amdhsa_system_sgpr_workgroup_id_z 0
		.amdhsa_system_sgpr_workgroup_info 0
		.amdhsa_system_vgpr_workitem_id 0
		.amdhsa_next_free_vgpr 42
		.amdhsa_next_free_sgpr 12
		.amdhsa_accum_offset 44
		.amdhsa_reserve_vcc 1
		.amdhsa_reserve_flat_scratch 0
		.amdhsa_float_round_mode_32 0
		.amdhsa_float_round_mode_16_64 0
		.amdhsa_float_denorm_mode_32 3
		.amdhsa_float_denorm_mode_16_64 3
		.amdhsa_dx10_clamp 1
		.amdhsa_ieee_mode 1
		.amdhsa_fp16_overflow 0
		.amdhsa_tg_split 0
		.amdhsa_exception_fp_ieee_invalid_op 0
		.amdhsa_exception_fp_denorm_src 0
		.amdhsa_exception_fp_ieee_div_zero 0
		.amdhsa_exception_fp_ieee_overflow 0
		.amdhsa_exception_fp_ieee_underflow 0
		.amdhsa_exception_fp_ieee_inexact 0
		.amdhsa_exception_int_div_zero 0
	.end_amdhsa_kernel
	.section	.text._ZN5aiter50hadamard_rotate_activation_fp4quant_inplace_kernelItLi512ELb0ELi16EEEvPT_PKS1_iii,"axG",@progbits,_ZN5aiter50hadamard_rotate_activation_fp4quant_inplace_kernelItLi512ELb0ELi16EEEvPT_PKS1_iii,comdat
.Lfunc_end14:
	.size	_ZN5aiter50hadamard_rotate_activation_fp4quant_inplace_kernelItLi512ELb0ELi16EEEvPT_PKS1_iii, .Lfunc_end14-_ZN5aiter50hadamard_rotate_activation_fp4quant_inplace_kernelItLi512ELb0ELi16EEEvPT_PKS1_iii
                                        ; -- End function
	.section	.AMDGPU.csdata,"",@progbits
; Kernel info:
; codeLenInByte = 2800
; NumSgprs: 16
; NumVgprs: 42
; NumAgprs: 0
; TotalNumVgprs: 42
; ScratchSize: 0
; MemoryBound: 0
; FloatMode: 240
; IeeeMode: 1
; LDSByteSize: 0 bytes/workgroup (compile time only)
; SGPRBlocks: 1
; VGPRBlocks: 5
; NumSGPRsForWavesPerEU: 16
; NumVGPRsForWavesPerEU: 42
; AccumOffset: 44
; Occupancy: 8
; WaveLimiterHint : 0
; COMPUTE_PGM_RSRC2:SCRATCH_EN: 0
; COMPUTE_PGM_RSRC2:USER_SGPR: 6
; COMPUTE_PGM_RSRC2:TRAP_HANDLER: 0
; COMPUTE_PGM_RSRC2:TGID_X_EN: 1
; COMPUTE_PGM_RSRC2:TGID_Y_EN: 0
; COMPUTE_PGM_RSRC2:TGID_Z_EN: 0
; COMPUTE_PGM_RSRC2:TIDIG_COMP_CNT: 0
; COMPUTE_PGM_RSRC3_GFX90A:ACCUM_OFFSET: 10
; COMPUTE_PGM_RSRC3_GFX90A:TG_SPLIT: 0
	.section	.text._ZN5aiter50hadamard_rotate_activation_fp4quant_inplace_kernelIDF16_Li1024ELb0ELi32EEEvPT_PKS1_iii,"axG",@progbits,_ZN5aiter50hadamard_rotate_activation_fp4quant_inplace_kernelIDF16_Li1024ELb0ELi32EEEvPT_PKS1_iii,comdat
	.protected	_ZN5aiter50hadamard_rotate_activation_fp4quant_inplace_kernelIDF16_Li1024ELb0ELi32EEEvPT_PKS1_iii ; -- Begin function _ZN5aiter50hadamard_rotate_activation_fp4quant_inplace_kernelIDF16_Li1024ELb0ELi32EEEvPT_PKS1_iii
	.globl	_ZN5aiter50hadamard_rotate_activation_fp4quant_inplace_kernelIDF16_Li1024ELb0ELi32EEEvPT_PKS1_iii
	.p2align	8
	.type	_ZN5aiter50hadamard_rotate_activation_fp4quant_inplace_kernelIDF16_Li1024ELb0ELi32EEEvPT_PKS1_iii,@function
_ZN5aiter50hadamard_rotate_activation_fp4quant_inplace_kernelIDF16_Li1024ELb0ELi32EEEvPT_PKS1_iii: ; @_ZN5aiter50hadamard_rotate_activation_fp4quant_inplace_kernelIDF16_Li1024ELb0ELi32EEEvPT_PKS1_iii
; %bb.0:
	s_load_dwordx2 s[0:1], s[4:5], 0x10
	s_load_dwordx4 s[8:11], s[4:5], 0x0
	s_lshl_b32 s2, s6, 1
	v_lshlrev_b32_e32 v22, 6, v0
	v_and_b32_e32 v1, 1, v0
	s_waitcnt lgkmcnt(0)
	s_sub_i32 s3, s0, s2
	s_cmp_lt_u32 s0, s2
	s_cselect_b32 s6, s3, 2
	s_mul_i32 s2, s2, s1
	s_mov_b32 s3, 0
	s_lshl_b64 s[4:5], s[2:3], 1
	s_add_u32 s0, s10, s4
	s_addc_u32 s3, s11, s5
	s_mul_i32 s1, s1, s6
	s_lshl_b32 s2, s1, 1
	s_and_b32 s1, s3, 0xffff
	s_mov_b32 s3, 0x20000
	buffer_load_dwordx4 v[2:5], v22, s[0:3], 0 offen
	buffer_load_dwordx4 v[6:9], v22, s[0:3], 16 offen
	;; [unrolled: 1-line block ×4, first 2 shown]
	v_cmp_eq_u32_e32 vcc, 0, v1
	s_add_u32 s0, s8, s4
	s_mov_b32 s4, 0x3d000000
	s_addc_u32 s1, s9, s5
	s_lshl_b32 s2, s6, 11
	s_and_b32 s1, s1, 0xffff
	s_waitcnt vmcnt(3)
	v_cvt_f32_f16_e32 v19, v3
	v_cvt_f32_f16_sdwa v18, v2 dst_sel:DWORD dst_unused:UNUSED_PAD src0_sel:WORD_1
	v_cvt_f32_f16_e32 v20, v2
	v_cvt_f32_f16_sdwa v21, v3 dst_sel:DWORD dst_unused:UNUSED_PAD src0_sel:WORD_1
	v_cvt_f32_f16_e32 v25, v5
	v_cvt_f32_f16_sdwa v24, v4 dst_sel:DWORD dst_unused:UNUSED_PAD src0_sel:WORD_1
	v_cvt_f32_f16_e32 v26, v4
	v_cvt_f32_f16_sdwa v27, v5 dst_sel:DWORD dst_unused:UNUSED_PAD src0_sel:WORD_1
	s_waitcnt vmcnt(2)
	v_cvt_f32_f16_e32 v29, v7
	v_cvt_f32_f16_sdwa v28, v6 dst_sel:DWORD dst_unused:UNUSED_PAD src0_sel:WORD_1
	v_cvt_f32_f16_e32 v30, v6
	v_cvt_f32_f16_sdwa v31, v7 dst_sel:DWORD dst_unused:UNUSED_PAD src0_sel:WORD_1
	v_cvt_f32_f16_e32 v33, v9
	v_cvt_f32_f16_sdwa v32, v8 dst_sel:DWORD dst_unused:UNUSED_PAD src0_sel:WORD_1
	v_cvt_f32_f16_e32 v34, v8
	v_cvt_f32_f16_sdwa v35, v9 dst_sel:DWORD dst_unused:UNUSED_PAD src0_sel:WORD_1
	;; [unrolled: 9-line block ×4, first 2 shown]
	v_mov_b32_e32 v48, v19
	v_mov_b32_e32 v49, v20
	v_mov_b32_e32 v50, v21
	v_mov_b32_e32 v51, v18
	v_pk_add_f32 v[2:3], v[18:19], v[20:21]
	v_pk_add_f32 v[4:5], v[18:19], v[20:21] neg_lo:[0,1] neg_hi:[0,1]
	v_mov_b32_e32 v18, v25
	v_mov_b32_e32 v19, v26
	v_mov_b32_e32 v20, v27
	v_mov_b32_e32 v21, v24
	v_pk_add_f32 v[6:7], v[24:25], v[26:27]
	v_pk_add_f32 v[8:9], v[24:25], v[26:27] neg_lo:[0,1] neg_hi:[0,1]
	;; [unrolled: 6-line block ×6, first 2 shown]
	v_pk_add_f32 v[50:51], v[18:19], v[20:21]
	v_pk_add_f32 v[18:19], v[18:19], v[20:21] neg_lo:[0,1] neg_hi:[0,1]
	v_pk_add_f32 v[20:21], v[24:25], v[26:27]
	v_pk_add_f32 v[24:25], v[24:25], v[26:27] neg_lo:[0,1] neg_hi:[0,1]
	;; [unrolled: 2-line block ×6, first 2 shown]
	v_mov_b32_e32 v10, v43
	v_mov_b32_e32 v11, v44
	;; [unrolled: 1-line block ×4, first 2 shown]
	v_pk_add_f32 v[64:65], v[10:11], v[40:41]
	v_pk_add_f32 v[40:41], v[10:11], v[40:41] neg_lo:[0,1] neg_hi:[0,1]
	v_pk_add_f32 v[66:67], v[42:43], v[44:45]
	v_pk_add_f32 v[42:43], v[42:43], v[44:45] neg_lo:[0,1] neg_hi:[0,1]
	v_mov_b32_e32 v10, v47
	v_mov_b32_e32 v11, v16
	v_mov_b32_e32 v44, v17
	v_mov_b32_e32 v45, v46
	v_pk_add_f32 v[68:69], v[10:11], v[44:45]
	v_pk_add_f32 v[44:45], v[10:11], v[44:45] neg_lo:[0,1] neg_hi:[0,1]
	v_pk_add_f32 v[70:71], v[46:47], v[16:17]
	v_pk_add_f32 v[16:17], v[46:47], v[16:17] neg_lo:[0,1] neg_hi:[0,1]
	v_mov_b32_e32 v61, v49
	v_mov_b32_e32 v3, v5
	v_mov_b32_e32 v51, v19
	v_mov_b32_e32 v7, v9
	v_mov_b32_e32 v21, v25
	v_mov_b32_e32 v13, v15
	v_mov_b32_e32 v27, v29
	v_mov_b32_e32 v53, v33
	v_mov_b32_e32 v31, v35
	v_mov_b32_e32 v57, v37
	v_mov_b32_e32 v55, v59
	v_mov_b32_e32 v63, v39
	v_mov_b32_e32 v65, v41
	v_mov_b32_e32 v67, v43
	v_mov_b32_e32 v69, v45
	v_mov_b32_e32 v71, v17
	v_pk_add_f32 v[46:47], v[2:3], v[60:61]
	v_pk_add_f32 v[72:73], v[6:7], v[50:51]
	;; [unrolled: 1-line block ×8, first 2 shown]
	v_mov_b32_e32 v3, v49
	v_mov_b32_e32 v61, v5
	;; [unrolled: 1-line block ×16, first 2 shown]
	v_pk_add_f32 v[86:87], v[46:47], v[72:73]
	v_pk_add_f32 v[88:89], v[74:75], v[76:77]
	;; [unrolled: 1-line block ×4, first 2 shown]
	v_pk_add_f32 v[2:3], v[2:3], v[60:61] neg_lo:[0,1] neg_hi:[0,1]
	v_pk_add_f32 v[4:5], v[6:7], v[50:51] neg_lo:[0,1] neg_hi:[0,1]
	v_pk_add_f32 v[6:7], v[12:13], v[20:21] neg_lo:[0,1] neg_hi:[0,1]
	v_pk_add_f32 v[8:9], v[52:53], v[26:27] neg_lo:[0,1] neg_hi:[0,1]
	v_pk_add_f32 v[12:13], v[56:57], v[30:31] neg_lo:[0,1] neg_hi:[0,1]
	v_pk_add_f32 v[14:15], v[62:63], v[54:55] neg_lo:[0,1] neg_hi:[0,1]
	v_pk_add_f32 v[18:19], v[66:67], v[64:65] neg_lo:[0,1] neg_hi:[0,1]
	v_pk_add_f32 v[16:17], v[70:71], v[68:69] neg_lo:[0,1] neg_hi:[0,1]
	v_pk_add_f32 v[10:11], v[86:87], v[88:89]
	v_pk_add_f32 v[94:95], v[90:91], v[92:93]
	;; [unrolled: 1-line block ×4, first 2 shown]
	v_pk_add_f32 v[2:3], v[2:3], v[4:5] neg_lo:[0,1] neg_hi:[0,1]
	v_pk_add_f32 v[4:5], v[6:7], v[8:9] neg_lo:[0,1] neg_hi:[0,1]
	;; [unrolled: 1-line block ×4, first 2 shown]
	v_pk_add_f32 v[96:97], v[10:11], v[94:95]
	v_pk_add_f32 v[26:27], v[12:13], v[14:15]
	;; [unrolled: 1-line block ×4, first 2 shown]
	v_pk_add_f32 v[2:3], v[2:3], v[4:5] neg_lo:[0,1] neg_hi:[0,1]
	v_pk_add_f32 v[4:5], v[6:7], v[8:9] neg_lo:[0,1] neg_hi:[0,1]
	v_pk_add_f32 v[30:31], v[20:21], v[24:25]
	v_pk_add_f32 v[32:33], v[26:27], v[28:29]
	;; [unrolled: 1-line block ×4, first 2 shown]
	v_pk_add_f32 v[2:3], v[2:3], v[4:5] neg_lo:[0,1] neg_hi:[0,1]
	v_sub_f32_dpp v4, v96, v96 quad_perm:[1,0,3,2] row_mask:0xf bank_mask:0xf bound_ctrl:1
	v_add_f32_dpp v5, v96, v96 quad_perm:[1,0,3,2] row_mask:0xf bank_mask:0xf bound_ctrl:1
	v_pk_add_f32 v[34:35], v[30:31], v[32:33]
	v_pk_add_f32 v[30:31], v[30:31], v[32:33] neg_lo:[0,1] neg_hi:[0,1]
	v_pk_add_f32 v[32:33], v[46:47], v[72:73] neg_lo:[0,1] neg_hi:[0,1]
	;; [unrolled: 1-line block ×5, first 2 shown]
	v_cndmask_b32_e32 v1, v4, v5, vcc
	v_sub_f32_dpp v4, v97, v97 quad_perm:[1,0,3,2] row_mask:0xf bank_mask:0xf bound_ctrl:1
	v_add_f32_dpp v5, v97, v97 quad_perm:[1,0,3,2] row_mask:0xf bank_mask:0xf bound_ctrl:1
	v_pk_add_f32 v[42:43], v[32:33], v[36:37]
	v_pk_add_f32 v[44:45], v[38:39], v[40:41]
	;; [unrolled: 1-line block ×3, first 2 shown]
	v_pk_add_f32 v[12:13], v[12:13], v[14:15] neg_lo:[0,1] neg_hi:[0,1]
	v_pk_add_f32 v[14:15], v[86:87], v[88:89] neg_lo:[0,1] neg_hi:[0,1]
	;; [unrolled: 1-line block ×3, first 2 shown]
	v_cndmask_b32_e32 v4, v4, v5, vcc
	v_sub_f32_dpp v5, v34, v34 quad_perm:[1,0,3,2] row_mask:0xf bank_mask:0xf bound_ctrl:1
	v_add_f32_dpp v8, v34, v34 quad_perm:[1,0,3,2] row_mask:0xf bank_mask:0xf bound_ctrl:1
	v_pk_add_f32 v[46:47], v[42:43], v[44:45]
	v_pk_add_f32 v[42:43], v[42:43], v[44:45] neg_lo:[0,1] neg_hi:[0,1]
	v_pk_add_f32 v[44:45], v[14:15], v[18:19]
	v_pk_add_f32 v[14:15], v[14:15], v[18:19] neg_lo:[0,1] neg_hi:[0,1]
	v_pk_add_f32 v[18:19], v[20:21], v[24:25] neg_lo:[0,1] neg_hi:[0,1]
	v_pk_add_f32 v[20:21], v[26:27], v[28:29] neg_lo:[0,1] neg_hi:[0,1]
	v_cndmask_b32_e32 v5, v5, v8, vcc
	v_sub_f32_dpp v8, v35, v35 quad_perm:[1,0,3,2] row_mask:0xf bank_mask:0xf bound_ctrl:1
	v_add_f32_dpp v9, v35, v35 quad_perm:[1,0,3,2] row_mask:0xf bank_mask:0xf bound_ctrl:1
	v_pk_add_f32 v[24:25], v[18:19], v[20:21]
	v_pk_add_f32 v[18:19], v[18:19], v[20:21] neg_lo:[0,1] neg_hi:[0,1]
	v_pk_add_f32 v[20:21], v[32:33], v[36:37] neg_lo:[0,1] neg_hi:[0,1]
	;; [unrolled: 1-line block ×3, first 2 shown]
	v_cndmask_b32_e32 v8, v8, v9, vcc
	v_sub_f32_dpp v9, v46, v46 quad_perm:[1,0,3,2] row_mask:0xf bank_mask:0xf bound_ctrl:1
	v_add_f32_dpp v23, v46, v46 quad_perm:[1,0,3,2] row_mask:0xf bank_mask:0xf bound_ctrl:1
	v_pk_add_f32 v[28:29], v[20:21], v[26:27]
	v_pk_add_f32 v[20:21], v[20:21], v[26:27] neg_lo:[0,1] neg_hi:[0,1]
	v_cndmask_b32_e32 v9, v9, v23, vcc
	v_sub_f32_dpp v23, v47, v47 quad_perm:[1,0,3,2] row_mask:0xf bank_mask:0xf bound_ctrl:1
	v_add_f32_dpp v26, v47, v47 quad_perm:[1,0,3,2] row_mask:0xf bank_mask:0xf bound_ctrl:1
	v_cndmask_b32_e32 v23, v23, v26, vcc
	v_add_f32_dpp v27, v44, v44 quad_perm:[1,0,3,2] row_mask:0xf bank_mask:0xf bound_ctrl:1
	v_sub_f32_dpp v26, v16, v16 quad_perm:[1,0,3,2] row_mask:0xf bank_mask:0xf bound_ctrl:1
	v_add_f32_dpp v16, v16, v16 quad_perm:[1,0,3,2] row_mask:0xf bank_mask:0xf bound_ctrl:1
	v_cndmask_b32_e32 v16, v26, v16, vcc
	v_sub_f32_dpp v26, v17, v17 quad_perm:[1,0,3,2] row_mask:0xf bank_mask:0xf bound_ctrl:1
	v_add_f32_dpp v17, v17, v17 quad_perm:[1,0,3,2] row_mask:0xf bank_mask:0xf bound_ctrl:1
	v_cndmask_b32_e32 v17, v26, v17, vcc
	v_sub_f32_dpp v26, v44, v44 quad_perm:[1,0,3,2] row_mask:0xf bank_mask:0xf bound_ctrl:1
	v_cndmask_b32_e32 v26, v26, v27, vcc
	v_sub_f32_dpp v27, v45, v45 quad_perm:[1,0,3,2] row_mask:0xf bank_mask:0xf bound_ctrl:1
	v_add_f32_dpp v32, v45, v45 quad_perm:[1,0,3,2] row_mask:0xf bank_mask:0xf bound_ctrl:1
	v_cndmask_b32_e32 v27, v27, v32, vcc
	v_pk_add_f32 v[10:11], v[10:11], v[94:95] neg_lo:[0,1] neg_hi:[0,1]
	v_sub_f32_dpp v32, v24, v24 quad_perm:[1,0,3,2] row_mask:0xf bank_mask:0xf bound_ctrl:1
	v_add_f32_dpp v24, v24, v24 quad_perm:[1,0,3,2] row_mask:0xf bank_mask:0xf bound_ctrl:1
	v_cndmask_b32_e32 v24, v32, v24, vcc
	v_sub_f32_dpp v32, v25, v25 quad_perm:[1,0,3,2] row_mask:0xf bank_mask:0xf bound_ctrl:1
	v_add_f32_dpp v25, v25, v25 quad_perm:[1,0,3,2] row_mask:0xf bank_mask:0xf bound_ctrl:1
	v_cndmask_b32_e32 v25, v32, v25, vcc
	;; [unrolled: 3-line block ×11, first 2 shown]
	v_add_f32_dpp v34, v43, v43 quad_perm:[1,0,3,2] row_mask:0xf bank_mask:0xf bound_ctrl:1
	v_sub_f32_dpp v33, v43, v43 quad_perm:[1,0,3,2] row_mask:0xf bank_mask:0xf bound_ctrl:1
	v_cndmask_b32_e32 v33, v33, v34, vcc
	v_sub_f32_dpp v34, v12, v12 quad_perm:[1,0,3,2] row_mask:0xf bank_mask:0xf bound_ctrl:1
	v_add_f32_dpp v12, v12, v12 quad_perm:[1,0,3,2] row_mask:0xf bank_mask:0xf bound_ctrl:1
	v_cndmask_b32_e32 v12, v34, v12, vcc
	v_sub_f32_dpp v34, v13, v13 quad_perm:[1,0,3,2] row_mask:0xf bank_mask:0xf bound_ctrl:1
	v_add_f32_dpp v13, v13, v13 quad_perm:[1,0,3,2] row_mask:0xf bank_mask:0xf bound_ctrl:1
	;; [unrolled: 3-line block ×10, first 2 shown]
	v_cndmask_b32_e32 v3, v34, v3, vcc
	v_and_b32_e32 v34, 2, v0
	v_cmp_eq_u32_e32 vcc, 0, v34
	v_sub_f32_dpp v35, v1, v1 quad_perm:[2,3,0,1] row_mask:0xf bank_mask:0xf bound_ctrl:1
	v_sub_f32_dpp v34, v4, v4 quad_perm:[2,3,0,1] row_mask:0xf bank_mask:0xf bound_ctrl:1
	v_add_f32_dpp v4, v4, v4 quad_perm:[2,3,0,1] row_mask:0xf bank_mask:0xf bound_ctrl:1
	v_cndmask_b32_e32 v4, v34, v4, vcc
	v_sub_f32_dpp v34, v5, v5 quad_perm:[2,3,0,1] row_mask:0xf bank_mask:0xf bound_ctrl:1
	v_add_f32_dpp v5, v5, v5 quad_perm:[2,3,0,1] row_mask:0xf bank_mask:0xf bound_ctrl:1
	v_cndmask_b32_e32 v5, v34, v5, vcc
	;; [unrolled: 3-line block ×28, first 2 shown]
	v_sub_f32_dpp v34, v21, v21 quad_perm:[2,3,0,1] row_mask:0xf bank_mask:0xf bound_ctrl:1
	v_add_f32_dpp v21, v21, v21 quad_perm:[2,3,0,1] row_mask:0xf bank_mask:0xf bound_ctrl:1
	v_add_f32_dpp v1, v1, v1 quad_perm:[2,3,0,1] row_mask:0xf bank_mask:0xf bound_ctrl:1
	v_cndmask_b32_e32 v21, v34, v21, vcc
	v_sub_f32_dpp v34, v2, v2 quad_perm:[2,3,0,1] row_mask:0xf bank_mask:0xf bound_ctrl:1
	v_add_f32_dpp v2, v2, v2 quad_perm:[2,3,0,1] row_mask:0xf bank_mask:0xf bound_ctrl:1
	v_cndmask_b32_e32 v1, v35, v1, vcc
	v_cndmask_b32_e32 v2, v34, v2, vcc
	v_sub_f32_dpp v34, v3, v3 quad_perm:[2,3,0,1] row_mask:0xf bank_mask:0xf bound_ctrl:1
	v_add_f32_dpp v3, v3, v3 quad_perm:[2,3,0,1] row_mask:0xf bank_mask:0xf bound_ctrl:1
	v_cndmask_b32_e32 v3, v34, v3, vcc
	v_mov_b32_dpp v34, v1 row_shl:4 row_mask:0xf bank_mask:0x5 bound_ctrl:1
	v_and_b32_e32 v35, 4, v0
	v_cmp_eq_u32_e32 vcc, 0, v35
	v_mov_b32_dpp v34, v1 row_shr:4 row_mask:0xf bank_mask:0xa bound_ctrl:1
	v_sub_f32_e32 v36, v34, v1
	v_add_f32_e32 v1, v1, v34
	v_mov_b32_dpp v34, v4 row_shl:4 row_mask:0xf bank_mask:0x5 bound_ctrl:1
	v_cndmask_b32_e32 v1, v36, v1, vcc
	s_nop 0
	v_mov_b32_dpp v34, v4 row_shr:4 row_mask:0xf bank_mask:0xa bound_ctrl:1
	v_sub_f32_e32 v35, v34, v4
	v_add_f32_e32 v4, v4, v34
	v_mov_b32_dpp v34, v5 row_shl:4 row_mask:0xf bank_mask:0x5 bound_ctrl:1
	v_cndmask_b32_e32 v4, v35, v4, vcc
	s_nop 0
	;; [unrolled: 6-line block ×31, first 2 shown]
	v_mov_b32_dpp v34, v3 row_shr:4 row_mask:0xf bank_mask:0xa bound_ctrl:1
	v_sub_f32_e32 v35, v34, v3
	v_add_f32_e32 v3, v3, v34
	v_and_b32_e32 v34, 8, v0
	v_cndmask_b32_e32 v3, v35, v3, vcc
	v_cmp_eq_u32_e32 vcc, 0, v34
	v_sub_f32_dpp v34, v4, v4 row_ror:8 row_mask:0xf bank_mask:0xf bound_ctrl:1
	v_add_f32_dpp v4, v4, v4 row_ror:8 row_mask:0xf bank_mask:0xf bound_ctrl:1
	v_cndmask_b32_e32 v4, v34, v4, vcc
	v_sub_f32_dpp v34, v5, v5 row_ror:8 row_mask:0xf bank_mask:0xf bound_ctrl:1
	v_add_f32_dpp v5, v5, v5 row_ror:8 row_mask:0xf bank_mask:0xf bound_ctrl:1
	v_cndmask_b32_e32 v5, v34, v5, vcc
	;; [unrolled: 3-line block ×13, first 2 shown]
	v_sub_f32_dpp v34, v6, v6 row_ror:8 row_mask:0xf bank_mask:0xf bound_ctrl:1
	v_add_f32_dpp v6, v6, v6 row_ror:8 row_mask:0xf bank_mask:0xf bound_ctrl:1
	v_sub_f32_dpp v35, v1, v1 row_ror:8 row_mask:0xf bank_mask:0xf bound_ctrl:1
	v_add_f32_dpp v1, v1, v1 row_ror:8 row_mask:0xf bank_mask:0xf bound_ctrl:1
	v_cndmask_b32_e32 v34, v34, v6, vcc
	v_sub_f32_dpp v6, v7, v7 row_ror:8 row_mask:0xf bank_mask:0xf bound_ctrl:1
	v_add_f32_dpp v7, v7, v7 row_ror:8 row_mask:0xf bank_mask:0xf bound_ctrl:1
	v_cndmask_b32_e32 v1, v35, v1, vcc
	v_cndmask_b32_e32 v35, v6, v7, vcc
	v_sub_f32_dpp v6, v10, v10 row_ror:8 row_mask:0xf bank_mask:0xf bound_ctrl:1
	v_add_f32_dpp v7, v10, v10 row_ror:8 row_mask:0xf bank_mask:0xf bound_ctrl:1
	v_cndmask_b32_e32 v36, v6, v7, vcc
	v_sub_f32_dpp v6, v11, v11 row_ror:8 row_mask:0xf bank_mask:0xf bound_ctrl:1
	v_add_f32_dpp v7, v11, v11 row_ror:8 row_mask:0xf bank_mask:0xf bound_ctrl:1
	v_cndmask_b32_e32 v37, v6, v7, vcc
	v_sub_f32_dpp v6, v30, v30 row_ror:8 row_mask:0xf bank_mask:0xf bound_ctrl:1
	v_add_f32_dpp v7, v30, v30 row_ror:8 row_mask:0xf bank_mask:0xf bound_ctrl:1
	v_cndmask_b32_e32 v30, v6, v7, vcc
	v_sub_f32_dpp v6, v31, v31 row_ror:8 row_mask:0xf bank_mask:0xf bound_ctrl:1
	v_add_f32_dpp v7, v31, v31 row_ror:8 row_mask:0xf bank_mask:0xf bound_ctrl:1
	v_cndmask_b32_e32 v31, v6, v7, vcc
	v_sub_f32_dpp v6, v32, v32 row_ror:8 row_mask:0xf bank_mask:0xf bound_ctrl:1
	v_add_f32_dpp v7, v32, v32 row_ror:8 row_mask:0xf bank_mask:0xf bound_ctrl:1
	v_cndmask_b32_e32 v32, v6, v7, vcc
	v_sub_f32_dpp v6, v33, v33 row_ror:8 row_mask:0xf bank_mask:0xf bound_ctrl:1
	v_add_f32_dpp v7, v33, v33 row_ror:8 row_mask:0xf bank_mask:0xf bound_ctrl:1
	v_cndmask_b32_e32 v33, v6, v7, vcc
	v_sub_f32_dpp v6, v12, v12 row_ror:8 row_mask:0xf bank_mask:0xf bound_ctrl:1
	v_add_f32_dpp v7, v12, v12 row_ror:8 row_mask:0xf bank_mask:0xf bound_ctrl:1
	v_cndmask_b32_e32 v38, v6, v7, vcc
	v_sub_f32_dpp v6, v13, v13 row_ror:8 row_mask:0xf bank_mask:0xf bound_ctrl:1
	v_add_f32_dpp v7, v13, v13 row_ror:8 row_mask:0xf bank_mask:0xf bound_ctrl:1
	v_cndmask_b32_e32 v39, v6, v7, vcc
	v_sub_f32_dpp v6, v14, v14 row_ror:8 row_mask:0xf bank_mask:0xf bound_ctrl:1
	v_add_f32_dpp v7, v14, v14 row_ror:8 row_mask:0xf bank_mask:0xf bound_ctrl:1
	v_cndmask_b32_e32 v40, v6, v7, vcc
	v_sub_f32_dpp v6, v15, v15 row_ror:8 row_mask:0xf bank_mask:0xf bound_ctrl:1
	v_add_f32_dpp v7, v15, v15 row_ror:8 row_mask:0xf bank_mask:0xf bound_ctrl:1
	v_cndmask_b32_e32 v41, v6, v7, vcc
	v_sub_f32_dpp v6, v18, v18 row_ror:8 row_mask:0xf bank_mask:0xf bound_ctrl:1
	v_add_f32_dpp v7, v18, v18 row_ror:8 row_mask:0xf bank_mask:0xf bound_ctrl:1
	v_cndmask_b32_e32 v42, v6, v7, vcc
	v_sub_f32_dpp v6, v19, v19 row_ror:8 row_mask:0xf bank_mask:0xf bound_ctrl:1
	v_add_f32_dpp v7, v19, v19 row_ror:8 row_mask:0xf bank_mask:0xf bound_ctrl:1
	v_cndmask_b32_e32 v43, v6, v7, vcc
	v_sub_f32_dpp v6, v20, v20 row_ror:8 row_mask:0xf bank_mask:0xf bound_ctrl:1
	v_add_f32_dpp v7, v20, v20 row_ror:8 row_mask:0xf bank_mask:0xf bound_ctrl:1
	v_cndmask_b32_e32 v44, v6, v7, vcc
	v_sub_f32_dpp v6, v21, v21 row_ror:8 row_mask:0xf bank_mask:0xf bound_ctrl:1
	v_add_f32_dpp v7, v21, v21 row_ror:8 row_mask:0xf bank_mask:0xf bound_ctrl:1
	v_cndmask_b32_e32 v45, v6, v7, vcc
	v_sub_f32_dpp v6, v2, v2 row_ror:8 row_mask:0xf bank_mask:0xf bound_ctrl:1
	v_add_f32_dpp v2, v2, v2 row_ror:8 row_mask:0xf bank_mask:0xf bound_ctrl:1
	v_cndmask_b32_e32 v46, v6, v2, vcc
	v_mbcnt_lo_u32_b32 v2, -1, 0
	v_mbcnt_hi_u32_b32 v2, -1, v2
	v_lshlrev_b32_e32 v2, 2, v2
	v_xor_b32_e32 v47, 64, v2
	ds_bpermute_b32 v2, v47, v1
	v_sub_f32_dpp v6, v3, v3 row_ror:8 row_mask:0xf bank_mask:0xf bound_ctrl:1
	v_add_f32_dpp v3, v3, v3 row_ror:8 row_mask:0xf bank_mask:0xf bound_ctrl:1
	v_and_b32_e32 v0, 16, v0
	v_cndmask_b32_e32 v48, v6, v3, vcc
	s_waitcnt lgkmcnt(0)
	v_sub_f32_e32 v3, v2, v1
	ds_bpermute_b32 v6, v47, v4
	v_add_f32_e32 v1, v1, v2
	v_cmp_eq_u32_e32 vcc, 0, v0
	v_cndmask_b32_e32 v49, v3, v1, vcc
	ds_bpermute_b32 v1, v47, v5
	s_waitcnt lgkmcnt(1)
	v_sub_f32_e32 v0, v6, v4
	v_add_f32_e32 v2, v4, v6
	v_cndmask_b32_e32 v0, v0, v2, vcc
	ds_bpermute_b32 v2, v47, v8
	s_waitcnt lgkmcnt(1)
	v_sub_f32_e32 v3, v1, v5
	v_add_f32_e32 v1, v5, v1
	;; [unrolled: 5-line block ×28, first 2 shown]
	v_cndmask_b32_e32 v21, v25, v21, vcc
	ds_bpermute_b32 v25, v47, v46
	ds_bpermute_b32 v32, v47, v48
	v_pk_mul_f32 v[0:1], v[0:1], s[4:5] op_sel_hi:[1,0]
	v_pk_mul_f32 v[2:3], v[2:3], s[4:5] op_sel_hi:[1,0]
	;; [unrolled: 1-line block ×3, first 2 shown]
	s_waitcnt lgkmcnt(2)
	v_sub_f32_e32 v31, v24, v45
	v_add_f32_e32 v24, v45, v24
	v_cvt_f16_f32_e32 v1, v1
	v_cvt_f16_f32_e32 v33, v3
	;; [unrolled: 1-line block ×6, first 2 shown]
	v_cndmask_b32_e32 v24, v31, v24, vcc
	s_waitcnt lgkmcnt(1)
	v_sub_f32_e32 v31, v25, v46
	v_add_f32_e32 v25, v46, v25
	v_cndmask_b32_e32 v25, v31, v25, vcc
	s_waitcnt lgkmcnt(0)
	v_sub_f32_e32 v31, v32, v48
	v_add_f32_e32 v32, v48, v32
	v_cndmask_b32_e32 v31, v31, v32, vcc
	v_fma_mixlo_f16 v32, v49, s4, 0
	v_pack_b32_f16 v2, v33, v4
	v_pack_b32_f16 v1, v1, v34
	;; [unrolled: 1-line block ×3, first 2 shown]
	v_fma_mixhi_f16 v3, v23, s4, 0
	buffer_store_dwordx4 v[0:3], v22, s[0:3], 0 offen
	v_pk_mul_f32 v[4:5], v[10:11], s[4:5] op_sel_hi:[1,0]
	v_pk_mul_f32 v[0:1], v[6:7], s[4:5] op_sel_hi:[1,0]
	v_pk_mul_f32 v[2:3], v[8:9], s[4:5] op_sel_hi:[1,0]
	v_cvt_f16_f32_e32 v1, v1
	v_cvt_f16_f32_e32 v6, v3
	v_cvt_f16_f32_e32 v4, v4
	v_cvt_f16_f32_e32 v7, v2
	v_cvt_f16_f32_e32 v0, v0
	v_cvt_f16_f32_e32 v3, v5
	v_fma_mixlo_f16 v23, v26, s4, 0
	v_pack_b32_f16 v2, v6, v4
	v_pack_b32_f16 v1, v1, v7
	v_pack_b32_f16 v0, v23, v0
	v_fma_mixhi_f16 v3, v27, s4, 0
	;;#ASMSTART
	s_nop 0
	;;#ASMEND
	buffer_store_dwordx4 v[0:3], v22, s[0:3], 16 offen
	v_pk_mul_f32 v[4:5], v[16:17], s[4:5] op_sel_hi:[1,0]
	v_pk_mul_f32 v[0:1], v[12:13], s[4:5] op_sel_hi:[1,0]
	v_pk_mul_f32 v[2:3], v[14:15], s[4:5] op_sel_hi:[1,0]
	v_cvt_f16_f32_e32 v1, v1
	v_cvt_f16_f32_e32 v7, v3
	v_cvt_f16_f32_e32 v4, v4
	v_cvt_f16_f32_e32 v8, v2
	v_cvt_f16_f32_e32 v0, v0
	v_cvt_f16_f32_e32 v3, v5
	v_fma_mixlo_f16 v6, v28, s4, 0
	v_pack_b32_f16 v2, v7, v4
	v_pack_b32_f16 v1, v1, v8
	v_pack_b32_f16 v0, v6, v0
	v_fma_mixhi_f16 v3, v29, s4, 0
	;;#ASMSTART
	s_nop 0
	;;#ASMEND
	;; [unrolled: 18-line block ×3, first 2 shown]
	buffer_store_dwordx4 v[0:3], v22, s[0:3], 48 offen
	;;#ASMSTART
	s_nop 0
	;;#ASMEND
	s_endpgm
	.section	.rodata,"a",@progbits
	.p2align	6, 0x0
	.amdhsa_kernel _ZN5aiter50hadamard_rotate_activation_fp4quant_inplace_kernelIDF16_Li1024ELb0ELi32EEEvPT_PKS1_iii
		.amdhsa_group_segment_fixed_size 0
		.amdhsa_private_segment_fixed_size 0
		.amdhsa_kernarg_size 28
		.amdhsa_user_sgpr_count 6
		.amdhsa_user_sgpr_private_segment_buffer 1
		.amdhsa_user_sgpr_dispatch_ptr 0
		.amdhsa_user_sgpr_queue_ptr 0
		.amdhsa_user_sgpr_kernarg_segment_ptr 1
		.amdhsa_user_sgpr_dispatch_id 0
		.amdhsa_user_sgpr_flat_scratch_init 0
		.amdhsa_user_sgpr_kernarg_preload_length 0
		.amdhsa_user_sgpr_kernarg_preload_offset 0
		.amdhsa_user_sgpr_private_segment_size 0
		.amdhsa_uses_dynamic_stack 0
		.amdhsa_system_sgpr_private_segment_wavefront_offset 0
		.amdhsa_system_sgpr_workgroup_id_x 1
		.amdhsa_system_sgpr_workgroup_id_y 0
		.amdhsa_system_sgpr_workgroup_id_z 0
		.amdhsa_system_sgpr_workgroup_info 0
		.amdhsa_system_vgpr_workitem_id 0
		.amdhsa_next_free_vgpr 98
		.amdhsa_next_free_sgpr 12
		.amdhsa_accum_offset 100
		.amdhsa_reserve_vcc 1
		.amdhsa_reserve_flat_scratch 0
		.amdhsa_float_round_mode_32 0
		.amdhsa_float_round_mode_16_64 0
		.amdhsa_float_denorm_mode_32 3
		.amdhsa_float_denorm_mode_16_64 3
		.amdhsa_dx10_clamp 1
		.amdhsa_ieee_mode 1
		.amdhsa_fp16_overflow 0
		.amdhsa_tg_split 0
		.amdhsa_exception_fp_ieee_invalid_op 0
		.amdhsa_exception_fp_denorm_src 0
		.amdhsa_exception_fp_ieee_div_zero 0
		.amdhsa_exception_fp_ieee_overflow 0
		.amdhsa_exception_fp_ieee_underflow 0
		.amdhsa_exception_fp_ieee_inexact 0
		.amdhsa_exception_int_div_zero 0
	.end_amdhsa_kernel
	.section	.text._ZN5aiter50hadamard_rotate_activation_fp4quant_inplace_kernelIDF16_Li1024ELb0ELi32EEEvPT_PKS1_iii,"axG",@progbits,_ZN5aiter50hadamard_rotate_activation_fp4quant_inplace_kernelIDF16_Li1024ELb0ELi32EEEvPT_PKS1_iii,comdat
.Lfunc_end15:
	.size	_ZN5aiter50hadamard_rotate_activation_fp4quant_inplace_kernelIDF16_Li1024ELb0ELi32EEEvPT_PKS1_iii, .Lfunc_end15-_ZN5aiter50hadamard_rotate_activation_fp4quant_inplace_kernelIDF16_Li1024ELb0ELi32EEEvPT_PKS1_iii
                                        ; -- End function
	.section	.AMDGPU.csdata,"",@progbits
; Kernel info:
; codeLenInByte = 5568
; NumSgprs: 16
; NumVgprs: 98
; NumAgprs: 0
; TotalNumVgprs: 98
; ScratchSize: 0
; MemoryBound: 0
; FloatMode: 240
; IeeeMode: 1
; LDSByteSize: 0 bytes/workgroup (compile time only)
; SGPRBlocks: 1
; VGPRBlocks: 12
; NumSGPRsForWavesPerEU: 16
; NumVGPRsForWavesPerEU: 98
; AccumOffset: 100
; Occupancy: 4
; WaveLimiterHint : 0
; COMPUTE_PGM_RSRC2:SCRATCH_EN: 0
; COMPUTE_PGM_RSRC2:USER_SGPR: 6
; COMPUTE_PGM_RSRC2:TRAP_HANDLER: 0
; COMPUTE_PGM_RSRC2:TGID_X_EN: 1
; COMPUTE_PGM_RSRC2:TGID_Y_EN: 0
; COMPUTE_PGM_RSRC2:TGID_Z_EN: 0
; COMPUTE_PGM_RSRC2:TIDIG_COMP_CNT: 0
; COMPUTE_PGM_RSRC3_GFX90A:ACCUM_OFFSET: 24
; COMPUTE_PGM_RSRC3_GFX90A:TG_SPLIT: 0
	.section	.text._ZN5aiter50hadamard_rotate_activation_fp4quant_inplace_kernelItLi1024ELb0ELi32EEEvPT_PKS1_iii,"axG",@progbits,_ZN5aiter50hadamard_rotate_activation_fp4quant_inplace_kernelItLi1024ELb0ELi32EEEvPT_PKS1_iii,comdat
	.protected	_ZN5aiter50hadamard_rotate_activation_fp4quant_inplace_kernelItLi1024ELb0ELi32EEEvPT_PKS1_iii ; -- Begin function _ZN5aiter50hadamard_rotate_activation_fp4quant_inplace_kernelItLi1024ELb0ELi32EEEvPT_PKS1_iii
	.globl	_ZN5aiter50hadamard_rotate_activation_fp4quant_inplace_kernelItLi1024ELb0ELi32EEEvPT_PKS1_iii
	.p2align	8
	.type	_ZN5aiter50hadamard_rotate_activation_fp4quant_inplace_kernelItLi1024ELb0ELi32EEEvPT_PKS1_iii,@function
_ZN5aiter50hadamard_rotate_activation_fp4quant_inplace_kernelItLi1024ELb0ELi32EEEvPT_PKS1_iii: ; @_ZN5aiter50hadamard_rotate_activation_fp4quant_inplace_kernelItLi1024ELb0ELi32EEEvPT_PKS1_iii
; %bb.0:
	s_load_dwordx2 s[0:1], s[4:5], 0x10
	s_load_dwordx4 s[8:11], s[4:5], 0x0
	s_lshl_b32 s2, s6, 1
	v_lshlrev_b32_e32 v22, 6, v0
	v_and_b32_e32 v1, 1, v0
	s_waitcnt lgkmcnt(0)
	s_sub_i32 s3, s0, s2
	s_cmp_lt_u32 s0, s2
	s_cselect_b32 s6, s3, 2
	s_mul_i32 s2, s2, s1
	s_mov_b32 s3, 0
	s_lshl_b64 s[4:5], s[2:3], 1
	s_add_u32 s0, s10, s4
	s_addc_u32 s3, s11, s5
	s_mul_i32 s1, s1, s6
	s_lshl_b32 s2, s1, 1
	s_and_b32 s1, s3, 0xffff
	s_mov_b32 s3, 0x20000
	buffer_load_dwordx4 v[2:5], v22, s[0:3], 0 offen
	buffer_load_dwordx4 v[6:9], v22, s[0:3], 16 offen
	;; [unrolled: 1-line block ×4, first 2 shown]
	v_cmp_eq_u32_e32 vcc, 0, v1
	s_add_u32 s0, s8, s4
	s_mov_b32 s4, 0x3d000000
	s_addc_u32 s1, s9, s5
	s_lshl_b32 s2, s6, 11
	s_and_b32 s1, s1, 0xffff
	s_waitcnt vmcnt(3)
	v_cvt_f32_u32_sdwa v19, v3 dst_sel:DWORD dst_unused:UNUSED_PAD src0_sel:WORD_0
	v_cvt_f32_u32_sdwa v18, v2 dst_sel:DWORD dst_unused:UNUSED_PAD src0_sel:WORD_1
	v_cvt_f32_u32_sdwa v21, v3 dst_sel:DWORD dst_unused:UNUSED_PAD src0_sel:WORD_1
	v_cvt_f32_u32_sdwa v20, v2 dst_sel:DWORD dst_unused:UNUSED_PAD src0_sel:WORD_0
	v_cvt_f32_u32_sdwa v25, v5 dst_sel:DWORD dst_unused:UNUSED_PAD src0_sel:WORD_0
	v_cvt_f32_u32_sdwa v24, v4 dst_sel:DWORD dst_unused:UNUSED_PAD src0_sel:WORD_1
	v_cvt_f32_u32_sdwa v27, v5 dst_sel:DWORD dst_unused:UNUSED_PAD src0_sel:WORD_1
	v_cvt_f32_u32_sdwa v26, v4 dst_sel:DWORD dst_unused:UNUSED_PAD src0_sel:WORD_0
	s_waitcnt vmcnt(2)
	v_cvt_f32_u32_sdwa v29, v7 dst_sel:DWORD dst_unused:UNUSED_PAD src0_sel:WORD_0
	v_cvt_f32_u32_sdwa v28, v6 dst_sel:DWORD dst_unused:UNUSED_PAD src0_sel:WORD_1
	v_cvt_f32_u32_sdwa v31, v7 dst_sel:DWORD dst_unused:UNUSED_PAD src0_sel:WORD_1
	v_cvt_f32_u32_sdwa v30, v6 dst_sel:DWORD dst_unused:UNUSED_PAD src0_sel:WORD_0
	v_cvt_f32_u32_sdwa v33, v9 dst_sel:DWORD dst_unused:UNUSED_PAD src0_sel:WORD_0
	v_cvt_f32_u32_sdwa v32, v8 dst_sel:DWORD dst_unused:UNUSED_PAD src0_sel:WORD_1
	v_cvt_f32_u32_sdwa v35, v9 dst_sel:DWORD dst_unused:UNUSED_PAD src0_sel:WORD_1
	v_cvt_f32_u32_sdwa v34, v8 dst_sel:DWORD dst_unused:UNUSED_PAD src0_sel:WORD_0
	;; [unrolled: 9-line block ×4, first 2 shown]
	v_mov_b32_e32 v48, v19
	v_mov_b32_e32 v49, v20
	v_mov_b32_e32 v50, v21
	v_mov_b32_e32 v51, v18
	v_pk_add_f32 v[2:3], v[18:19], v[20:21]
	v_pk_add_f32 v[4:5], v[18:19], v[20:21] neg_lo:[0,1] neg_hi:[0,1]
	v_mov_b32_e32 v18, v25
	v_mov_b32_e32 v19, v26
	v_mov_b32_e32 v20, v27
	v_mov_b32_e32 v21, v24
	v_pk_add_f32 v[6:7], v[24:25], v[26:27]
	v_pk_add_f32 v[8:9], v[24:25], v[26:27] neg_lo:[0,1] neg_hi:[0,1]
	v_mov_b32_e32 v24, v29
	v_mov_b32_e32 v25, v30
	v_mov_b32_e32 v26, v31
	v_mov_b32_e32 v27, v28
	v_pk_add_f32 v[12:13], v[28:29], v[30:31]
	v_pk_add_f32 v[14:15], v[28:29], v[30:31] neg_lo:[0,1] neg_hi:[0,1]
	v_mov_b32_e32 v28, v33
	v_mov_b32_e32 v29, v34
	v_mov_b32_e32 v30, v35
	v_mov_b32_e32 v31, v32
	v_pk_add_f32 v[52:53], v[32:33], v[34:35]
	v_pk_add_f32 v[32:33], v[32:33], v[34:35] neg_lo:[0,1] neg_hi:[0,1]
	v_mov_b32_e32 v34, v37
	v_mov_b32_e32 v35, v10
	v_mov_b32_e32 v54, v11
	v_mov_b32_e32 v55, v36
	v_pk_add_f32 v[56:57], v[36:37], v[10:11]
	v_pk_add_f32 v[36:37], v[36:37], v[10:11] neg_lo:[0,1] neg_hi:[0,1]
	v_mov_b32_e32 v10, v39
	v_mov_b32_e32 v11, v40
	v_mov_b32_e32 v58, v41
	v_mov_b32_e32 v59, v38
	v_pk_add_f32 v[60:61], v[48:49], v[50:51]
	v_pk_add_f32 v[48:49], v[48:49], v[50:51] neg_lo:[0,1] neg_hi:[0,1]
	v_pk_add_f32 v[50:51], v[18:19], v[20:21]
	v_pk_add_f32 v[18:19], v[18:19], v[20:21] neg_lo:[0,1] neg_hi:[0,1]
	v_pk_add_f32 v[20:21], v[24:25], v[26:27]
	v_pk_add_f32 v[24:25], v[24:25], v[26:27] neg_lo:[0,1] neg_hi:[0,1]
	;; [unrolled: 2-line block ×6, first 2 shown]
	v_mov_b32_e32 v10, v43
	v_mov_b32_e32 v11, v44
	v_mov_b32_e32 v40, v45
	v_mov_b32_e32 v41, v42
	v_pk_add_f32 v[64:65], v[10:11], v[40:41]
	v_pk_add_f32 v[40:41], v[10:11], v[40:41] neg_lo:[0,1] neg_hi:[0,1]
	v_pk_add_f32 v[66:67], v[42:43], v[44:45]
	v_pk_add_f32 v[42:43], v[42:43], v[44:45] neg_lo:[0,1] neg_hi:[0,1]
	v_mov_b32_e32 v10, v47
	v_mov_b32_e32 v11, v16
	;; [unrolled: 1-line block ×4, first 2 shown]
	v_pk_add_f32 v[68:69], v[10:11], v[44:45]
	v_pk_add_f32 v[44:45], v[10:11], v[44:45] neg_lo:[0,1] neg_hi:[0,1]
	v_pk_add_f32 v[70:71], v[46:47], v[16:17]
	v_pk_add_f32 v[16:17], v[46:47], v[16:17] neg_lo:[0,1] neg_hi:[0,1]
	v_mov_b32_e32 v61, v49
	v_mov_b32_e32 v3, v5
	;; [unrolled: 1-line block ×16, first 2 shown]
	v_pk_add_f32 v[46:47], v[2:3], v[60:61]
	v_pk_add_f32 v[72:73], v[6:7], v[50:51]
	;; [unrolled: 1-line block ×8, first 2 shown]
	v_mov_b32_e32 v3, v49
	v_mov_b32_e32 v61, v5
	;; [unrolled: 1-line block ×16, first 2 shown]
	v_pk_add_f32 v[86:87], v[46:47], v[72:73]
	v_pk_add_f32 v[88:89], v[74:75], v[76:77]
	;; [unrolled: 1-line block ×4, first 2 shown]
	v_pk_add_f32 v[2:3], v[2:3], v[60:61] neg_lo:[0,1] neg_hi:[0,1]
	v_pk_add_f32 v[4:5], v[6:7], v[50:51] neg_lo:[0,1] neg_hi:[0,1]
	;; [unrolled: 1-line block ×8, first 2 shown]
	v_pk_add_f32 v[10:11], v[86:87], v[88:89]
	v_pk_add_f32 v[94:95], v[90:91], v[92:93]
	;; [unrolled: 1-line block ×4, first 2 shown]
	v_pk_add_f32 v[2:3], v[2:3], v[4:5] neg_lo:[0,1] neg_hi:[0,1]
	v_pk_add_f32 v[4:5], v[6:7], v[8:9] neg_lo:[0,1] neg_hi:[0,1]
	v_pk_add_f32 v[6:7], v[12:13], v[14:15] neg_lo:[0,1] neg_hi:[0,1]
	v_pk_add_f32 v[8:9], v[18:19], v[16:17] neg_lo:[0,1] neg_hi:[0,1]
	v_pk_add_f32 v[96:97], v[10:11], v[94:95]
	v_pk_add_f32 v[26:27], v[12:13], v[14:15]
	v_pk_add_f32 v[28:29], v[18:19], v[16:17]
	v_pk_add_f32 v[12:13], v[2:3], v[4:5]
	v_pk_add_f32 v[2:3], v[2:3], v[4:5] neg_lo:[0,1] neg_hi:[0,1]
	v_pk_add_f32 v[4:5], v[6:7], v[8:9] neg_lo:[0,1] neg_hi:[0,1]
	v_pk_add_f32 v[30:31], v[20:21], v[24:25]
	v_pk_add_f32 v[32:33], v[26:27], v[28:29]
	;; [unrolled: 1-line block ×4, first 2 shown]
	v_pk_add_f32 v[2:3], v[2:3], v[4:5] neg_lo:[0,1] neg_hi:[0,1]
	v_sub_f32_dpp v4, v96, v96 quad_perm:[1,0,3,2] row_mask:0xf bank_mask:0xf bound_ctrl:1
	v_add_f32_dpp v5, v96, v96 quad_perm:[1,0,3,2] row_mask:0xf bank_mask:0xf bound_ctrl:1
	v_pk_add_f32 v[34:35], v[30:31], v[32:33]
	v_pk_add_f32 v[30:31], v[30:31], v[32:33] neg_lo:[0,1] neg_hi:[0,1]
	v_pk_add_f32 v[32:33], v[46:47], v[72:73] neg_lo:[0,1] neg_hi:[0,1]
	;; [unrolled: 1-line block ×5, first 2 shown]
	v_cndmask_b32_e32 v1, v4, v5, vcc
	v_sub_f32_dpp v4, v97, v97 quad_perm:[1,0,3,2] row_mask:0xf bank_mask:0xf bound_ctrl:1
	v_add_f32_dpp v5, v97, v97 quad_perm:[1,0,3,2] row_mask:0xf bank_mask:0xf bound_ctrl:1
	v_pk_add_f32 v[42:43], v[32:33], v[36:37]
	v_pk_add_f32 v[44:45], v[38:39], v[40:41]
	;; [unrolled: 1-line block ×3, first 2 shown]
	v_pk_add_f32 v[12:13], v[12:13], v[14:15] neg_lo:[0,1] neg_hi:[0,1]
	v_pk_add_f32 v[14:15], v[86:87], v[88:89] neg_lo:[0,1] neg_hi:[0,1]
	;; [unrolled: 1-line block ×3, first 2 shown]
	v_cndmask_b32_e32 v4, v4, v5, vcc
	v_sub_f32_dpp v5, v34, v34 quad_perm:[1,0,3,2] row_mask:0xf bank_mask:0xf bound_ctrl:1
	v_add_f32_dpp v8, v34, v34 quad_perm:[1,0,3,2] row_mask:0xf bank_mask:0xf bound_ctrl:1
	v_pk_add_f32 v[46:47], v[42:43], v[44:45]
	v_pk_add_f32 v[42:43], v[42:43], v[44:45] neg_lo:[0,1] neg_hi:[0,1]
	v_pk_add_f32 v[44:45], v[14:15], v[18:19]
	v_pk_add_f32 v[14:15], v[14:15], v[18:19] neg_lo:[0,1] neg_hi:[0,1]
	v_pk_add_f32 v[18:19], v[20:21], v[24:25] neg_lo:[0,1] neg_hi:[0,1]
	;; [unrolled: 1-line block ×3, first 2 shown]
	v_cndmask_b32_e32 v5, v5, v8, vcc
	v_sub_f32_dpp v8, v35, v35 quad_perm:[1,0,3,2] row_mask:0xf bank_mask:0xf bound_ctrl:1
	v_add_f32_dpp v9, v35, v35 quad_perm:[1,0,3,2] row_mask:0xf bank_mask:0xf bound_ctrl:1
	v_pk_add_f32 v[24:25], v[18:19], v[20:21]
	v_pk_add_f32 v[18:19], v[18:19], v[20:21] neg_lo:[0,1] neg_hi:[0,1]
	v_pk_add_f32 v[20:21], v[32:33], v[36:37] neg_lo:[0,1] neg_hi:[0,1]
	;; [unrolled: 1-line block ×3, first 2 shown]
	v_cndmask_b32_e32 v8, v8, v9, vcc
	v_sub_f32_dpp v9, v46, v46 quad_perm:[1,0,3,2] row_mask:0xf bank_mask:0xf bound_ctrl:1
	v_add_f32_dpp v23, v46, v46 quad_perm:[1,0,3,2] row_mask:0xf bank_mask:0xf bound_ctrl:1
	v_pk_add_f32 v[28:29], v[20:21], v[26:27]
	v_pk_add_f32 v[20:21], v[20:21], v[26:27] neg_lo:[0,1] neg_hi:[0,1]
	v_cndmask_b32_e32 v9, v9, v23, vcc
	v_sub_f32_dpp v23, v47, v47 quad_perm:[1,0,3,2] row_mask:0xf bank_mask:0xf bound_ctrl:1
	v_add_f32_dpp v26, v47, v47 quad_perm:[1,0,3,2] row_mask:0xf bank_mask:0xf bound_ctrl:1
	v_cndmask_b32_e32 v23, v23, v26, vcc
	v_add_f32_dpp v27, v44, v44 quad_perm:[1,0,3,2] row_mask:0xf bank_mask:0xf bound_ctrl:1
	v_sub_f32_dpp v26, v16, v16 quad_perm:[1,0,3,2] row_mask:0xf bank_mask:0xf bound_ctrl:1
	v_add_f32_dpp v16, v16, v16 quad_perm:[1,0,3,2] row_mask:0xf bank_mask:0xf bound_ctrl:1
	v_cndmask_b32_e32 v16, v26, v16, vcc
	v_sub_f32_dpp v26, v17, v17 quad_perm:[1,0,3,2] row_mask:0xf bank_mask:0xf bound_ctrl:1
	v_add_f32_dpp v17, v17, v17 quad_perm:[1,0,3,2] row_mask:0xf bank_mask:0xf bound_ctrl:1
	v_cndmask_b32_e32 v17, v26, v17, vcc
	v_sub_f32_dpp v26, v44, v44 quad_perm:[1,0,3,2] row_mask:0xf bank_mask:0xf bound_ctrl:1
	v_cndmask_b32_e32 v26, v26, v27, vcc
	v_sub_f32_dpp v27, v45, v45 quad_perm:[1,0,3,2] row_mask:0xf bank_mask:0xf bound_ctrl:1
	v_add_f32_dpp v32, v45, v45 quad_perm:[1,0,3,2] row_mask:0xf bank_mask:0xf bound_ctrl:1
	v_cndmask_b32_e32 v27, v27, v32, vcc
	v_pk_add_f32 v[10:11], v[10:11], v[94:95] neg_lo:[0,1] neg_hi:[0,1]
	v_sub_f32_dpp v32, v24, v24 quad_perm:[1,0,3,2] row_mask:0xf bank_mask:0xf bound_ctrl:1
	v_add_f32_dpp v24, v24, v24 quad_perm:[1,0,3,2] row_mask:0xf bank_mask:0xf bound_ctrl:1
	v_cndmask_b32_e32 v24, v32, v24, vcc
	v_sub_f32_dpp v32, v25, v25 quad_perm:[1,0,3,2] row_mask:0xf bank_mask:0xf bound_ctrl:1
	v_add_f32_dpp v25, v25, v25 quad_perm:[1,0,3,2] row_mask:0xf bank_mask:0xf bound_ctrl:1
	v_cndmask_b32_e32 v25, v32, v25, vcc
	;; [unrolled: 3-line block ×11, first 2 shown]
	v_add_f32_dpp v34, v43, v43 quad_perm:[1,0,3,2] row_mask:0xf bank_mask:0xf bound_ctrl:1
	v_sub_f32_dpp v33, v43, v43 quad_perm:[1,0,3,2] row_mask:0xf bank_mask:0xf bound_ctrl:1
	v_cndmask_b32_e32 v33, v33, v34, vcc
	v_sub_f32_dpp v34, v12, v12 quad_perm:[1,0,3,2] row_mask:0xf bank_mask:0xf bound_ctrl:1
	v_add_f32_dpp v12, v12, v12 quad_perm:[1,0,3,2] row_mask:0xf bank_mask:0xf bound_ctrl:1
	v_cndmask_b32_e32 v12, v34, v12, vcc
	v_sub_f32_dpp v34, v13, v13 quad_perm:[1,0,3,2] row_mask:0xf bank_mask:0xf bound_ctrl:1
	v_add_f32_dpp v13, v13, v13 quad_perm:[1,0,3,2] row_mask:0xf bank_mask:0xf bound_ctrl:1
	;; [unrolled: 3-line block ×10, first 2 shown]
	v_cndmask_b32_e32 v3, v34, v3, vcc
	v_and_b32_e32 v34, 2, v0
	v_cmp_eq_u32_e32 vcc, 0, v34
	v_sub_f32_dpp v35, v1, v1 quad_perm:[2,3,0,1] row_mask:0xf bank_mask:0xf bound_ctrl:1
	v_sub_f32_dpp v34, v4, v4 quad_perm:[2,3,0,1] row_mask:0xf bank_mask:0xf bound_ctrl:1
	v_add_f32_dpp v4, v4, v4 quad_perm:[2,3,0,1] row_mask:0xf bank_mask:0xf bound_ctrl:1
	v_cndmask_b32_e32 v4, v34, v4, vcc
	v_sub_f32_dpp v34, v5, v5 quad_perm:[2,3,0,1] row_mask:0xf bank_mask:0xf bound_ctrl:1
	v_add_f32_dpp v5, v5, v5 quad_perm:[2,3,0,1] row_mask:0xf bank_mask:0xf bound_ctrl:1
	v_cndmask_b32_e32 v5, v34, v5, vcc
	;; [unrolled: 3-line block ×28, first 2 shown]
	v_sub_f32_dpp v34, v21, v21 quad_perm:[2,3,0,1] row_mask:0xf bank_mask:0xf bound_ctrl:1
	v_add_f32_dpp v21, v21, v21 quad_perm:[2,3,0,1] row_mask:0xf bank_mask:0xf bound_ctrl:1
	v_add_f32_dpp v1, v1, v1 quad_perm:[2,3,0,1] row_mask:0xf bank_mask:0xf bound_ctrl:1
	v_cndmask_b32_e32 v21, v34, v21, vcc
	v_sub_f32_dpp v34, v2, v2 quad_perm:[2,3,0,1] row_mask:0xf bank_mask:0xf bound_ctrl:1
	v_add_f32_dpp v2, v2, v2 quad_perm:[2,3,0,1] row_mask:0xf bank_mask:0xf bound_ctrl:1
	v_cndmask_b32_e32 v1, v35, v1, vcc
	v_cndmask_b32_e32 v2, v34, v2, vcc
	v_sub_f32_dpp v34, v3, v3 quad_perm:[2,3,0,1] row_mask:0xf bank_mask:0xf bound_ctrl:1
	v_add_f32_dpp v3, v3, v3 quad_perm:[2,3,0,1] row_mask:0xf bank_mask:0xf bound_ctrl:1
	v_cndmask_b32_e32 v3, v34, v3, vcc
	v_mov_b32_dpp v34, v1 row_shl:4 row_mask:0xf bank_mask:0x5 bound_ctrl:1
	v_and_b32_e32 v35, 4, v0
	v_cmp_eq_u32_e32 vcc, 0, v35
	v_mov_b32_dpp v34, v1 row_shr:4 row_mask:0xf bank_mask:0xa bound_ctrl:1
	v_sub_f32_e32 v36, v34, v1
	v_add_f32_e32 v1, v1, v34
	v_mov_b32_dpp v34, v4 row_shl:4 row_mask:0xf bank_mask:0x5 bound_ctrl:1
	v_cndmask_b32_e32 v1, v36, v1, vcc
	s_nop 0
	v_mov_b32_dpp v34, v4 row_shr:4 row_mask:0xf bank_mask:0xa bound_ctrl:1
	v_sub_f32_e32 v35, v34, v4
	v_add_f32_e32 v4, v4, v34
	v_mov_b32_dpp v34, v5 row_shl:4 row_mask:0xf bank_mask:0x5 bound_ctrl:1
	v_cndmask_b32_e32 v4, v35, v4, vcc
	s_nop 0
	;; [unrolled: 6-line block ×31, first 2 shown]
	v_mov_b32_dpp v34, v3 row_shr:4 row_mask:0xf bank_mask:0xa bound_ctrl:1
	v_sub_f32_e32 v35, v34, v3
	v_add_f32_e32 v3, v3, v34
	v_and_b32_e32 v34, 8, v0
	v_cndmask_b32_e32 v3, v35, v3, vcc
	v_cmp_eq_u32_e32 vcc, 0, v34
	v_sub_f32_dpp v34, v4, v4 row_ror:8 row_mask:0xf bank_mask:0xf bound_ctrl:1
	v_add_f32_dpp v4, v4, v4 row_ror:8 row_mask:0xf bank_mask:0xf bound_ctrl:1
	v_cndmask_b32_e32 v4, v34, v4, vcc
	v_sub_f32_dpp v34, v5, v5 row_ror:8 row_mask:0xf bank_mask:0xf bound_ctrl:1
	v_add_f32_dpp v5, v5, v5 row_ror:8 row_mask:0xf bank_mask:0xf bound_ctrl:1
	v_cndmask_b32_e32 v5, v34, v5, vcc
	;; [unrolled: 3-line block ×13, first 2 shown]
	v_sub_f32_dpp v34, v6, v6 row_ror:8 row_mask:0xf bank_mask:0xf bound_ctrl:1
	v_add_f32_dpp v6, v6, v6 row_ror:8 row_mask:0xf bank_mask:0xf bound_ctrl:1
	v_sub_f32_dpp v35, v1, v1 row_ror:8 row_mask:0xf bank_mask:0xf bound_ctrl:1
	v_add_f32_dpp v1, v1, v1 row_ror:8 row_mask:0xf bank_mask:0xf bound_ctrl:1
	v_cndmask_b32_e32 v34, v34, v6, vcc
	v_sub_f32_dpp v6, v7, v7 row_ror:8 row_mask:0xf bank_mask:0xf bound_ctrl:1
	v_add_f32_dpp v7, v7, v7 row_ror:8 row_mask:0xf bank_mask:0xf bound_ctrl:1
	v_cndmask_b32_e32 v1, v35, v1, vcc
	v_cndmask_b32_e32 v35, v6, v7, vcc
	v_sub_f32_dpp v6, v10, v10 row_ror:8 row_mask:0xf bank_mask:0xf bound_ctrl:1
	v_add_f32_dpp v7, v10, v10 row_ror:8 row_mask:0xf bank_mask:0xf bound_ctrl:1
	v_cndmask_b32_e32 v36, v6, v7, vcc
	v_sub_f32_dpp v6, v11, v11 row_ror:8 row_mask:0xf bank_mask:0xf bound_ctrl:1
	v_add_f32_dpp v7, v11, v11 row_ror:8 row_mask:0xf bank_mask:0xf bound_ctrl:1
	;; [unrolled: 3-line block ×15, first 2 shown]
	v_cndmask_b32_e32 v46, v6, v2, vcc
	v_mbcnt_lo_u32_b32 v2, -1, 0
	v_mbcnt_hi_u32_b32 v2, -1, v2
	v_lshlrev_b32_e32 v2, 2, v2
	v_xor_b32_e32 v47, 64, v2
	ds_bpermute_b32 v2, v47, v1
	v_sub_f32_dpp v6, v3, v3 row_ror:8 row_mask:0xf bank_mask:0xf bound_ctrl:1
	v_add_f32_dpp v3, v3, v3 row_ror:8 row_mask:0xf bank_mask:0xf bound_ctrl:1
	v_cndmask_b32_e32 v48, v6, v3, vcc
	ds_bpermute_b32 v6, v47, v4
	s_waitcnt lgkmcnt(1)
	v_sub_f32_e32 v3, v2, v1
	v_add_f32_e32 v1, v1, v2
	ds_bpermute_b32 v2, v47, v5
	v_and_b32_e32 v0, 16, v0
	v_cmp_eq_u32_e32 vcc, 0, v0
	v_cndmask_b32_e32 v0, v3, v1, vcc
	s_waitcnt lgkmcnt(1)
	v_sub_f32_e32 v1, v6, v4
	v_add_f32_e32 v3, v4, v6
	v_cndmask_b32_e32 v1, v1, v3, vcc
	ds_bpermute_b32 v3, v47, v8
	s_waitcnt lgkmcnt(1)
	v_sub_f32_e32 v4, v2, v5
	v_add_f32_e32 v2, v5, v2
	v_cndmask_b32_e32 v2, v4, v2, vcc
	ds_bpermute_b32 v4, v47, v9
	;; [unrolled: 5-line block ×28, first 2 shown]
	ds_bpermute_b32 v33, v47, v48
	v_pk_mul_f32 v[34:35], v[0:1], s[4:5] op_sel_hi:[1,0]
	v_pk_mul_f32 v[0:1], v[2:3], s[4:5] op_sel_hi:[1,0]
	;; [unrolled: 1-line block ×4, first 2 shown]
	s_mov_b32 s5, 0x7060302
	v_perm_b32 v3, v3, v2, s5
	v_perm_b32 v2, v5, v4, s5
	;; [unrolled: 1-line block ×4, first 2 shown]
	s_waitcnt lgkmcnt(2)
	v_sub_f32_e32 v32, v31, v45
	v_add_f32_e32 v31, v45, v31
	buffer_store_dwordx4 v[0:3], v22, s[0:3], 0 offen
	v_pk_mul_f32 v[4:5], v[6:7], s[4:5] op_sel_hi:[1,0]
	v_pk_mul_f32 v[0:1], v[10:11], s[4:5] op_sel_hi:[1,0]
	;; [unrolled: 1-line block ×4, first 2 shown]
	v_cndmask_b32_e32 v31, v32, v31, vcc
	s_waitcnt lgkmcnt(1)
	v_sub_f32_e32 v32, v23, v46
	v_add_f32_e32 v23, v46, v23
	v_perm_b32 v3, v3, v2, s5
	v_perm_b32 v2, v7, v6, s5
	;; [unrolled: 1-line block ×4, first 2 shown]
	v_cndmask_b32_e32 v32, v32, v23, vcc
	s_waitcnt lgkmcnt(0)
	v_sub_f32_e32 v23, v33, v48
	v_add_f32_e32 v33, v48, v33
	;;#ASMSTART
	s_nop 0
	;;#ASMEND
	buffer_store_dwordx4 v[0:3], v22, s[0:3], 16 offen
	v_pk_mul_f32 v[4:5], v[16:17], s[4:5] op_sel_hi:[1,0]
	v_pk_mul_f32 v[0:1], v[18:19], s[4:5] op_sel_hi:[1,0]
	;; [unrolled: 1-line block ×4, first 2 shown]
	v_cndmask_b32_e32 v33, v23, v33, vcc
	v_perm_b32 v3, v3, v2, s5
	v_perm_b32 v2, v7, v6, s5
	;; [unrolled: 1-line block ×4, first 2 shown]
	;;#ASMSTART
	s_nop 0
	;;#ASMEND
	buffer_store_dwordx4 v[0:3], v22, s[0:3], 32 offen
	v_pk_mul_f32 v[4:5], v[26:27], s[4:5] op_sel_hi:[1,0]
	v_pk_mul_f32 v[0:1], v[28:29], s[4:5] op_sel_hi:[1,0]
	;; [unrolled: 1-line block ×4, first 2 shown]
	v_perm_b32 v3, v3, v2, s5
	v_perm_b32 v2, v7, v6, s5
	;; [unrolled: 1-line block ×4, first 2 shown]
	;;#ASMSTART
	s_nop 0
	;;#ASMEND
	buffer_store_dwordx4 v[0:3], v22, s[0:3], 48 offen
	;;#ASMSTART
	s_nop 0
	;;#ASMEND
	s_endpgm
	.section	.rodata,"a",@progbits
	.p2align	6, 0x0
	.amdhsa_kernel _ZN5aiter50hadamard_rotate_activation_fp4quant_inplace_kernelItLi1024ELb0ELi32EEEvPT_PKS1_iii
		.amdhsa_group_segment_fixed_size 0
		.amdhsa_private_segment_fixed_size 0
		.amdhsa_kernarg_size 28
		.amdhsa_user_sgpr_count 6
		.amdhsa_user_sgpr_private_segment_buffer 1
		.amdhsa_user_sgpr_dispatch_ptr 0
		.amdhsa_user_sgpr_queue_ptr 0
		.amdhsa_user_sgpr_kernarg_segment_ptr 1
		.amdhsa_user_sgpr_dispatch_id 0
		.amdhsa_user_sgpr_flat_scratch_init 0
		.amdhsa_user_sgpr_kernarg_preload_length 0
		.amdhsa_user_sgpr_kernarg_preload_offset 0
		.amdhsa_user_sgpr_private_segment_size 0
		.amdhsa_uses_dynamic_stack 0
		.amdhsa_system_sgpr_private_segment_wavefront_offset 0
		.amdhsa_system_sgpr_workgroup_id_x 1
		.amdhsa_system_sgpr_workgroup_id_y 0
		.amdhsa_system_sgpr_workgroup_id_z 0
		.amdhsa_system_sgpr_workgroup_info 0
		.amdhsa_system_vgpr_workitem_id 0
		.amdhsa_next_free_vgpr 98
		.amdhsa_next_free_sgpr 12
		.amdhsa_accum_offset 100
		.amdhsa_reserve_vcc 1
		.amdhsa_reserve_flat_scratch 0
		.amdhsa_float_round_mode_32 0
		.amdhsa_float_round_mode_16_64 0
		.amdhsa_float_denorm_mode_32 3
		.amdhsa_float_denorm_mode_16_64 3
		.amdhsa_dx10_clamp 1
		.amdhsa_ieee_mode 1
		.amdhsa_fp16_overflow 0
		.amdhsa_tg_split 0
		.amdhsa_exception_fp_ieee_invalid_op 0
		.amdhsa_exception_fp_denorm_src 0
		.amdhsa_exception_fp_ieee_div_zero 0
		.amdhsa_exception_fp_ieee_overflow 0
		.amdhsa_exception_fp_ieee_underflow 0
		.amdhsa_exception_fp_ieee_inexact 0
		.amdhsa_exception_int_div_zero 0
	.end_amdhsa_kernel
	.section	.text._ZN5aiter50hadamard_rotate_activation_fp4quant_inplace_kernelItLi1024ELb0ELi32EEEvPT_PKS1_iii,"axG",@progbits,_ZN5aiter50hadamard_rotate_activation_fp4quant_inplace_kernelItLi1024ELb0ELi32EEEvPT_PKS1_iii,comdat
.Lfunc_end16:
	.size	_ZN5aiter50hadamard_rotate_activation_fp4quant_inplace_kernelItLi1024ELb0ELi32EEEvPT_PKS1_iii, .Lfunc_end16-_ZN5aiter50hadamard_rotate_activation_fp4quant_inplace_kernelItLi1024ELb0ELi32EEEvPT_PKS1_iii
                                        ; -- End function
	.section	.AMDGPU.csdata,"",@progbits
; Kernel info:
; codeLenInByte = 5544
; NumSgprs: 16
; NumVgprs: 98
; NumAgprs: 0
; TotalNumVgprs: 98
; ScratchSize: 0
; MemoryBound: 0
; FloatMode: 240
; IeeeMode: 1
; LDSByteSize: 0 bytes/workgroup (compile time only)
; SGPRBlocks: 1
; VGPRBlocks: 12
; NumSGPRsForWavesPerEU: 16
; NumVGPRsForWavesPerEU: 98
; AccumOffset: 100
; Occupancy: 4
; WaveLimiterHint : 0
; COMPUTE_PGM_RSRC2:SCRATCH_EN: 0
; COMPUTE_PGM_RSRC2:USER_SGPR: 6
; COMPUTE_PGM_RSRC2:TRAP_HANDLER: 0
; COMPUTE_PGM_RSRC2:TGID_X_EN: 1
; COMPUTE_PGM_RSRC2:TGID_Y_EN: 0
; COMPUTE_PGM_RSRC2:TGID_Z_EN: 0
; COMPUTE_PGM_RSRC2:TIDIG_COMP_CNT: 0
; COMPUTE_PGM_RSRC3_GFX90A:ACCUM_OFFSET: 24
; COMPUTE_PGM_RSRC3_GFX90A:TG_SPLIT: 0
	.section	.text._ZN5aiter55rope_hadamard_rotate_activation_fp4quant_inplace_kernelIDF16_Li128ELb1ELi16EEEvPT_PKS1_S4_S4_PKliiiii,"axG",@progbits,_ZN5aiter55rope_hadamard_rotate_activation_fp4quant_inplace_kernelIDF16_Li128ELb1ELi16EEEvPT_PKS1_S4_S4_PKliiiii,comdat
	.protected	_ZN5aiter55rope_hadamard_rotate_activation_fp4quant_inplace_kernelIDF16_Li128ELb1ELi16EEEvPT_PKS1_S4_S4_PKliiiii ; -- Begin function _ZN5aiter55rope_hadamard_rotate_activation_fp4quant_inplace_kernelIDF16_Li128ELb1ELi16EEEvPT_PKS1_S4_S4_PKliiiii
	.globl	_ZN5aiter55rope_hadamard_rotate_activation_fp4quant_inplace_kernelIDF16_Li128ELb1ELi16EEEvPT_PKS1_S4_S4_PKliiiii
	.p2align	8
	.type	_ZN5aiter55rope_hadamard_rotate_activation_fp4quant_inplace_kernelIDF16_Li128ELb1ELi16EEEvPT_PKS1_S4_S4_PKliiiii,@function
_ZN5aiter55rope_hadamard_rotate_activation_fp4quant_inplace_kernelIDF16_Li128ELb1ELi16EEEvPT_PKS1_S4_S4_PKliiiii: ; @_ZN5aiter55rope_hadamard_rotate_activation_fp4quant_inplace_kernelIDF16_Li128ELb1ELi16EEEvPT_PKS1_S4_S4_PKliiiii
; %bb.0:
	s_load_dword s2, s[4:5], 0x34
	s_load_dwordx2 s[0:1], s[4:5], 0x0
	s_load_dword s7, s[4:5], 0x28
	s_lshl_b32 s4, s6, 3
	v_lshlrev_b32_e32 v4, 5, v0
	s_waitcnt lgkmcnt(0)
	s_mul_hi_i32 s3, s2, s4
	s_mul_i32 s2, s2, s4
	s_sub_i32 s4, s7, s4
	s_min_i32 s4, s4, 8
	s_lshl_b64 s[2:3], s[2:3], 1
	s_add_u32 s0, s0, s2
	s_addc_u32 s1, s1, s3
	s_lshl_b32 s2, s4, 8
	s_mov_b32 s4, 0
	s_mov_b32 s5, s4
	;; [unrolled: 1-line block ×4, first 2 shown]
	v_pk_mov_b32 v[0:1], s[4:5], s[4:5] op_sel:[0,1]
	s_and_b32 s1, s1, 0xffff
	s_mov_b32 s3, 0x20000
	v_pk_mov_b32 v[2:3], s[6:7], s[6:7] op_sel:[0,1]
	buffer_store_dwordx4 v[0:3], v4, s[0:3], 0 offen
	buffer_store_dwordx4 v[0:3], v4, s[0:3], 16 offen
	s_endpgm
	.section	.rodata,"a",@progbits
	.p2align	6, 0x0
	.amdhsa_kernel _ZN5aiter55rope_hadamard_rotate_activation_fp4quant_inplace_kernelIDF16_Li128ELb1ELi16EEEvPT_PKS1_S4_S4_PKliiiii
		.amdhsa_group_segment_fixed_size 0
		.amdhsa_private_segment_fixed_size 0
		.amdhsa_kernarg_size 60
		.amdhsa_user_sgpr_count 6
		.amdhsa_user_sgpr_private_segment_buffer 1
		.amdhsa_user_sgpr_dispatch_ptr 0
		.amdhsa_user_sgpr_queue_ptr 0
		.amdhsa_user_sgpr_kernarg_segment_ptr 1
		.amdhsa_user_sgpr_dispatch_id 0
		.amdhsa_user_sgpr_flat_scratch_init 0
		.amdhsa_user_sgpr_kernarg_preload_length 0
		.amdhsa_user_sgpr_kernarg_preload_offset 0
		.amdhsa_user_sgpr_private_segment_size 0
		.amdhsa_uses_dynamic_stack 0
		.amdhsa_system_sgpr_private_segment_wavefront_offset 0
		.amdhsa_system_sgpr_workgroup_id_x 1
		.amdhsa_system_sgpr_workgroup_id_y 0
		.amdhsa_system_sgpr_workgroup_id_z 0
		.amdhsa_system_sgpr_workgroup_info 0
		.amdhsa_system_vgpr_workitem_id 0
		.amdhsa_next_free_vgpr 5
		.amdhsa_next_free_sgpr 8
		.amdhsa_accum_offset 8
		.amdhsa_reserve_vcc 0
		.amdhsa_reserve_flat_scratch 0
		.amdhsa_float_round_mode_32 0
		.amdhsa_float_round_mode_16_64 0
		.amdhsa_float_denorm_mode_32 3
		.amdhsa_float_denorm_mode_16_64 3
		.amdhsa_dx10_clamp 1
		.amdhsa_ieee_mode 1
		.amdhsa_fp16_overflow 0
		.amdhsa_tg_split 0
		.amdhsa_exception_fp_ieee_invalid_op 0
		.amdhsa_exception_fp_denorm_src 0
		.amdhsa_exception_fp_ieee_div_zero 0
		.amdhsa_exception_fp_ieee_overflow 0
		.amdhsa_exception_fp_ieee_underflow 0
		.amdhsa_exception_fp_ieee_inexact 0
		.amdhsa_exception_int_div_zero 0
	.end_amdhsa_kernel
	.section	.text._ZN5aiter55rope_hadamard_rotate_activation_fp4quant_inplace_kernelIDF16_Li128ELb1ELi16EEEvPT_PKS1_S4_S4_PKliiiii,"axG",@progbits,_ZN5aiter55rope_hadamard_rotate_activation_fp4quant_inplace_kernelIDF16_Li128ELb1ELi16EEEvPT_PKS1_S4_S4_PKliiiii,comdat
.Lfunc_end17:
	.size	_ZN5aiter55rope_hadamard_rotate_activation_fp4quant_inplace_kernelIDF16_Li128ELb1ELi16EEEvPT_PKS1_S4_S4_PKliiiii, .Lfunc_end17-_ZN5aiter55rope_hadamard_rotate_activation_fp4quant_inplace_kernelIDF16_Li128ELb1ELi16EEEvPT_PKS1_S4_S4_PKliiiii
                                        ; -- End function
	.section	.AMDGPU.csdata,"",@progbits
; Kernel info:
; codeLenInByte = 136
; NumSgprs: 12
; NumVgprs: 5
; NumAgprs: 0
; TotalNumVgprs: 5
; ScratchSize: 0
; MemoryBound: 0
; FloatMode: 240
; IeeeMode: 1
; LDSByteSize: 0 bytes/workgroup (compile time only)
; SGPRBlocks: 1
; VGPRBlocks: 0
; NumSGPRsForWavesPerEU: 12
; NumVGPRsForWavesPerEU: 5
; AccumOffset: 8
; Occupancy: 8
; WaveLimiterHint : 0
; COMPUTE_PGM_RSRC2:SCRATCH_EN: 0
; COMPUTE_PGM_RSRC2:USER_SGPR: 6
; COMPUTE_PGM_RSRC2:TRAP_HANDLER: 0
; COMPUTE_PGM_RSRC2:TGID_X_EN: 1
; COMPUTE_PGM_RSRC2:TGID_Y_EN: 0
; COMPUTE_PGM_RSRC2:TGID_Z_EN: 0
; COMPUTE_PGM_RSRC2:TIDIG_COMP_CNT: 0
; COMPUTE_PGM_RSRC3_GFX90A:ACCUM_OFFSET: 1
; COMPUTE_PGM_RSRC3_GFX90A:TG_SPLIT: 0
	.section	.text._ZN5aiter55rope_hadamard_rotate_activation_fp4quant_inplace_kernelItLi128ELb1ELi16EEEvPT_PKS1_S4_S4_PKliiiii,"axG",@progbits,_ZN5aiter55rope_hadamard_rotate_activation_fp4quant_inplace_kernelItLi128ELb1ELi16EEEvPT_PKS1_S4_S4_PKliiiii,comdat
	.protected	_ZN5aiter55rope_hadamard_rotate_activation_fp4quant_inplace_kernelItLi128ELb1ELi16EEEvPT_PKS1_S4_S4_PKliiiii ; -- Begin function _ZN5aiter55rope_hadamard_rotate_activation_fp4quant_inplace_kernelItLi128ELb1ELi16EEEvPT_PKS1_S4_S4_PKliiiii
	.globl	_ZN5aiter55rope_hadamard_rotate_activation_fp4quant_inplace_kernelItLi128ELb1ELi16EEEvPT_PKS1_S4_S4_PKliiiii
	.p2align	8
	.type	_ZN5aiter55rope_hadamard_rotate_activation_fp4quant_inplace_kernelItLi128ELb1ELi16EEEvPT_PKS1_S4_S4_PKliiiii,@function
_ZN5aiter55rope_hadamard_rotate_activation_fp4quant_inplace_kernelItLi128ELb1ELi16EEEvPT_PKS1_S4_S4_PKliiiii: ; @_ZN5aiter55rope_hadamard_rotate_activation_fp4quant_inplace_kernelItLi128ELb1ELi16EEEvPT_PKS1_S4_S4_PKliiiii
; %bb.0:
	s_load_dword s2, s[4:5], 0x34
	s_load_dwordx2 s[0:1], s[4:5], 0x0
	s_load_dword s7, s[4:5], 0x28
	s_lshl_b32 s4, s6, 3
	v_lshlrev_b32_e32 v4, 5, v0
	s_waitcnt lgkmcnt(0)
	s_mul_hi_i32 s3, s2, s4
	s_mul_i32 s2, s2, s4
	s_sub_i32 s4, s7, s4
	s_min_i32 s4, s4, 8
	s_lshl_b64 s[2:3], s[2:3], 1
	s_add_u32 s0, s0, s2
	s_addc_u32 s1, s1, s3
	s_lshl_b32 s2, s4, 8
	s_mov_b32 s4, 0
	s_mov_b32 s5, s4
	;; [unrolled: 1-line block ×4, first 2 shown]
	v_pk_mov_b32 v[0:1], s[4:5], s[4:5] op_sel:[0,1]
	s_and_b32 s1, s1, 0xffff
	s_mov_b32 s3, 0x20000
	v_pk_mov_b32 v[2:3], s[6:7], s[6:7] op_sel:[0,1]
	buffer_store_dwordx4 v[0:3], v4, s[0:3], 0 offen
	buffer_store_dwordx4 v[0:3], v4, s[0:3], 16 offen
	s_endpgm
	.section	.rodata,"a",@progbits
	.p2align	6, 0x0
	.amdhsa_kernel _ZN5aiter55rope_hadamard_rotate_activation_fp4quant_inplace_kernelItLi128ELb1ELi16EEEvPT_PKS1_S4_S4_PKliiiii
		.amdhsa_group_segment_fixed_size 0
		.amdhsa_private_segment_fixed_size 0
		.amdhsa_kernarg_size 60
		.amdhsa_user_sgpr_count 6
		.amdhsa_user_sgpr_private_segment_buffer 1
		.amdhsa_user_sgpr_dispatch_ptr 0
		.amdhsa_user_sgpr_queue_ptr 0
		.amdhsa_user_sgpr_kernarg_segment_ptr 1
		.amdhsa_user_sgpr_dispatch_id 0
		.amdhsa_user_sgpr_flat_scratch_init 0
		.amdhsa_user_sgpr_kernarg_preload_length 0
		.amdhsa_user_sgpr_kernarg_preload_offset 0
		.amdhsa_user_sgpr_private_segment_size 0
		.amdhsa_uses_dynamic_stack 0
		.amdhsa_system_sgpr_private_segment_wavefront_offset 0
		.amdhsa_system_sgpr_workgroup_id_x 1
		.amdhsa_system_sgpr_workgroup_id_y 0
		.amdhsa_system_sgpr_workgroup_id_z 0
		.amdhsa_system_sgpr_workgroup_info 0
		.amdhsa_system_vgpr_workitem_id 0
		.amdhsa_next_free_vgpr 5
		.amdhsa_next_free_sgpr 8
		.amdhsa_accum_offset 8
		.amdhsa_reserve_vcc 0
		.amdhsa_reserve_flat_scratch 0
		.amdhsa_float_round_mode_32 0
		.amdhsa_float_round_mode_16_64 0
		.amdhsa_float_denorm_mode_32 3
		.amdhsa_float_denorm_mode_16_64 3
		.amdhsa_dx10_clamp 1
		.amdhsa_ieee_mode 1
		.amdhsa_fp16_overflow 0
		.amdhsa_tg_split 0
		.amdhsa_exception_fp_ieee_invalid_op 0
		.amdhsa_exception_fp_denorm_src 0
		.amdhsa_exception_fp_ieee_div_zero 0
		.amdhsa_exception_fp_ieee_overflow 0
		.amdhsa_exception_fp_ieee_underflow 0
		.amdhsa_exception_fp_ieee_inexact 0
		.amdhsa_exception_int_div_zero 0
	.end_amdhsa_kernel
	.section	.text._ZN5aiter55rope_hadamard_rotate_activation_fp4quant_inplace_kernelItLi128ELb1ELi16EEEvPT_PKS1_S4_S4_PKliiiii,"axG",@progbits,_ZN5aiter55rope_hadamard_rotate_activation_fp4quant_inplace_kernelItLi128ELb1ELi16EEEvPT_PKS1_S4_S4_PKliiiii,comdat
.Lfunc_end18:
	.size	_ZN5aiter55rope_hadamard_rotate_activation_fp4quant_inplace_kernelItLi128ELb1ELi16EEEvPT_PKS1_S4_S4_PKliiiii, .Lfunc_end18-_ZN5aiter55rope_hadamard_rotate_activation_fp4quant_inplace_kernelItLi128ELb1ELi16EEEvPT_PKS1_S4_S4_PKliiiii
                                        ; -- End function
	.section	.AMDGPU.csdata,"",@progbits
; Kernel info:
; codeLenInByte = 136
; NumSgprs: 12
; NumVgprs: 5
; NumAgprs: 0
; TotalNumVgprs: 5
; ScratchSize: 0
; MemoryBound: 0
; FloatMode: 240
; IeeeMode: 1
; LDSByteSize: 0 bytes/workgroup (compile time only)
; SGPRBlocks: 1
; VGPRBlocks: 0
; NumSGPRsForWavesPerEU: 12
; NumVGPRsForWavesPerEU: 5
; AccumOffset: 8
; Occupancy: 8
; WaveLimiterHint : 0
; COMPUTE_PGM_RSRC2:SCRATCH_EN: 0
; COMPUTE_PGM_RSRC2:USER_SGPR: 6
; COMPUTE_PGM_RSRC2:TRAP_HANDLER: 0
; COMPUTE_PGM_RSRC2:TGID_X_EN: 1
; COMPUTE_PGM_RSRC2:TGID_Y_EN: 0
; COMPUTE_PGM_RSRC2:TGID_Z_EN: 0
; COMPUTE_PGM_RSRC2:TIDIG_COMP_CNT: 0
; COMPUTE_PGM_RSRC3_GFX90A:ACCUM_OFFSET: 1
; COMPUTE_PGM_RSRC3_GFX90A:TG_SPLIT: 0
	.section	.text._ZN5aiter55rope_hadamard_rotate_activation_fp4quant_inplace_kernelIDF16_Li256ELb1ELi16EEEvPT_PKS1_S4_S4_PKliiiii,"axG",@progbits,_ZN5aiter55rope_hadamard_rotate_activation_fp4quant_inplace_kernelIDF16_Li256ELb1ELi16EEEvPT_PKS1_S4_S4_PKliiiii,comdat
	.protected	_ZN5aiter55rope_hadamard_rotate_activation_fp4quant_inplace_kernelIDF16_Li256ELb1ELi16EEEvPT_PKS1_S4_S4_PKliiiii ; -- Begin function _ZN5aiter55rope_hadamard_rotate_activation_fp4quant_inplace_kernelIDF16_Li256ELb1ELi16EEEvPT_PKS1_S4_S4_PKliiiii
	.globl	_ZN5aiter55rope_hadamard_rotate_activation_fp4quant_inplace_kernelIDF16_Li256ELb1ELi16EEEvPT_PKS1_S4_S4_PKliiiii
	.p2align	8
	.type	_ZN5aiter55rope_hadamard_rotate_activation_fp4quant_inplace_kernelIDF16_Li256ELb1ELi16EEEvPT_PKS1_S4_S4_PKliiiii,@function
_ZN5aiter55rope_hadamard_rotate_activation_fp4quant_inplace_kernelIDF16_Li256ELb1ELi16EEEvPT_PKS1_S4_S4_PKliiiii: ; @_ZN5aiter55rope_hadamard_rotate_activation_fp4quant_inplace_kernelIDF16_Li256ELb1ELi16EEEvPT_PKS1_S4_S4_PKliiiii
; %bb.0:
	s_load_dword s2, s[4:5], 0x34
	s_load_dwordx2 s[0:1], s[4:5], 0x0
	s_load_dword s7, s[4:5], 0x28
	s_lshl_b32 s4, s6, 2
	v_lshlrev_b32_e32 v4, 5, v0
	s_waitcnt lgkmcnt(0)
	s_mul_hi_i32 s3, s2, s4
	s_mul_i32 s2, s2, s4
	s_sub_i32 s4, s7, s4
	s_min_i32 s4, s4, 4
	s_lshl_b64 s[2:3], s[2:3], 1
	s_add_u32 s0, s0, s2
	s_addc_u32 s1, s1, s3
	s_lshl_b32 s2, s4, 9
	s_mov_b32 s4, 0
	s_mov_b32 s5, s4
	;; [unrolled: 1-line block ×4, first 2 shown]
	v_pk_mov_b32 v[0:1], s[4:5], s[4:5] op_sel:[0,1]
	s_and_b32 s1, s1, 0xffff
	s_mov_b32 s3, 0x20000
	v_pk_mov_b32 v[2:3], s[6:7], s[6:7] op_sel:[0,1]
	buffer_store_dwordx4 v[0:3], v4, s[0:3], 0 offen
	buffer_store_dwordx4 v[0:3], v4, s[0:3], 16 offen
	s_endpgm
	.section	.rodata,"a",@progbits
	.p2align	6, 0x0
	.amdhsa_kernel _ZN5aiter55rope_hadamard_rotate_activation_fp4quant_inplace_kernelIDF16_Li256ELb1ELi16EEEvPT_PKS1_S4_S4_PKliiiii
		.amdhsa_group_segment_fixed_size 0
		.amdhsa_private_segment_fixed_size 0
		.amdhsa_kernarg_size 60
		.amdhsa_user_sgpr_count 6
		.amdhsa_user_sgpr_private_segment_buffer 1
		.amdhsa_user_sgpr_dispatch_ptr 0
		.amdhsa_user_sgpr_queue_ptr 0
		.amdhsa_user_sgpr_kernarg_segment_ptr 1
		.amdhsa_user_sgpr_dispatch_id 0
		.amdhsa_user_sgpr_flat_scratch_init 0
		.amdhsa_user_sgpr_kernarg_preload_length 0
		.amdhsa_user_sgpr_kernarg_preload_offset 0
		.amdhsa_user_sgpr_private_segment_size 0
		.amdhsa_uses_dynamic_stack 0
		.amdhsa_system_sgpr_private_segment_wavefront_offset 0
		.amdhsa_system_sgpr_workgroup_id_x 1
		.amdhsa_system_sgpr_workgroup_id_y 0
		.amdhsa_system_sgpr_workgroup_id_z 0
		.amdhsa_system_sgpr_workgroup_info 0
		.amdhsa_system_vgpr_workitem_id 0
		.amdhsa_next_free_vgpr 5
		.amdhsa_next_free_sgpr 8
		.amdhsa_accum_offset 8
		.amdhsa_reserve_vcc 0
		.amdhsa_reserve_flat_scratch 0
		.amdhsa_float_round_mode_32 0
		.amdhsa_float_round_mode_16_64 0
		.amdhsa_float_denorm_mode_32 3
		.amdhsa_float_denorm_mode_16_64 3
		.amdhsa_dx10_clamp 1
		.amdhsa_ieee_mode 1
		.amdhsa_fp16_overflow 0
		.amdhsa_tg_split 0
		.amdhsa_exception_fp_ieee_invalid_op 0
		.amdhsa_exception_fp_denorm_src 0
		.amdhsa_exception_fp_ieee_div_zero 0
		.amdhsa_exception_fp_ieee_overflow 0
		.amdhsa_exception_fp_ieee_underflow 0
		.amdhsa_exception_fp_ieee_inexact 0
		.amdhsa_exception_int_div_zero 0
	.end_amdhsa_kernel
	.section	.text._ZN5aiter55rope_hadamard_rotate_activation_fp4quant_inplace_kernelIDF16_Li256ELb1ELi16EEEvPT_PKS1_S4_S4_PKliiiii,"axG",@progbits,_ZN5aiter55rope_hadamard_rotate_activation_fp4quant_inplace_kernelIDF16_Li256ELb1ELi16EEEvPT_PKS1_S4_S4_PKliiiii,comdat
.Lfunc_end19:
	.size	_ZN5aiter55rope_hadamard_rotate_activation_fp4quant_inplace_kernelIDF16_Li256ELb1ELi16EEEvPT_PKS1_S4_S4_PKliiiii, .Lfunc_end19-_ZN5aiter55rope_hadamard_rotate_activation_fp4quant_inplace_kernelIDF16_Li256ELb1ELi16EEEvPT_PKS1_S4_S4_PKliiiii
                                        ; -- End function
	.section	.AMDGPU.csdata,"",@progbits
; Kernel info:
; codeLenInByte = 136
; NumSgprs: 12
; NumVgprs: 5
; NumAgprs: 0
; TotalNumVgprs: 5
; ScratchSize: 0
; MemoryBound: 0
; FloatMode: 240
; IeeeMode: 1
; LDSByteSize: 0 bytes/workgroup (compile time only)
; SGPRBlocks: 1
; VGPRBlocks: 0
; NumSGPRsForWavesPerEU: 12
; NumVGPRsForWavesPerEU: 5
; AccumOffset: 8
; Occupancy: 8
; WaveLimiterHint : 0
; COMPUTE_PGM_RSRC2:SCRATCH_EN: 0
; COMPUTE_PGM_RSRC2:USER_SGPR: 6
; COMPUTE_PGM_RSRC2:TRAP_HANDLER: 0
; COMPUTE_PGM_RSRC2:TGID_X_EN: 1
; COMPUTE_PGM_RSRC2:TGID_Y_EN: 0
; COMPUTE_PGM_RSRC2:TGID_Z_EN: 0
; COMPUTE_PGM_RSRC2:TIDIG_COMP_CNT: 0
; COMPUTE_PGM_RSRC3_GFX90A:ACCUM_OFFSET: 1
; COMPUTE_PGM_RSRC3_GFX90A:TG_SPLIT: 0
	.section	.text._ZN5aiter55rope_hadamard_rotate_activation_fp4quant_inplace_kernelItLi256ELb1ELi16EEEvPT_PKS1_S4_S4_PKliiiii,"axG",@progbits,_ZN5aiter55rope_hadamard_rotate_activation_fp4quant_inplace_kernelItLi256ELb1ELi16EEEvPT_PKS1_S4_S4_PKliiiii,comdat
	.protected	_ZN5aiter55rope_hadamard_rotate_activation_fp4quant_inplace_kernelItLi256ELb1ELi16EEEvPT_PKS1_S4_S4_PKliiiii ; -- Begin function _ZN5aiter55rope_hadamard_rotate_activation_fp4quant_inplace_kernelItLi256ELb1ELi16EEEvPT_PKS1_S4_S4_PKliiiii
	.globl	_ZN5aiter55rope_hadamard_rotate_activation_fp4quant_inplace_kernelItLi256ELb1ELi16EEEvPT_PKS1_S4_S4_PKliiiii
	.p2align	8
	.type	_ZN5aiter55rope_hadamard_rotate_activation_fp4quant_inplace_kernelItLi256ELb1ELi16EEEvPT_PKS1_S4_S4_PKliiiii,@function
_ZN5aiter55rope_hadamard_rotate_activation_fp4quant_inplace_kernelItLi256ELb1ELi16EEEvPT_PKS1_S4_S4_PKliiiii: ; @_ZN5aiter55rope_hadamard_rotate_activation_fp4quant_inplace_kernelItLi256ELb1ELi16EEEvPT_PKS1_S4_S4_PKliiiii
; %bb.0:
	s_load_dword s2, s[4:5], 0x34
	s_load_dwordx2 s[0:1], s[4:5], 0x0
	s_load_dword s7, s[4:5], 0x28
	s_lshl_b32 s4, s6, 2
	v_lshlrev_b32_e32 v4, 5, v0
	s_waitcnt lgkmcnt(0)
	s_mul_hi_i32 s3, s2, s4
	s_mul_i32 s2, s2, s4
	s_sub_i32 s4, s7, s4
	s_min_i32 s4, s4, 4
	s_lshl_b64 s[2:3], s[2:3], 1
	s_add_u32 s0, s0, s2
	s_addc_u32 s1, s1, s3
	s_lshl_b32 s2, s4, 9
	s_mov_b32 s4, 0
	s_mov_b32 s5, s4
	;; [unrolled: 1-line block ×4, first 2 shown]
	v_pk_mov_b32 v[0:1], s[4:5], s[4:5] op_sel:[0,1]
	s_and_b32 s1, s1, 0xffff
	s_mov_b32 s3, 0x20000
	v_pk_mov_b32 v[2:3], s[6:7], s[6:7] op_sel:[0,1]
	buffer_store_dwordx4 v[0:3], v4, s[0:3], 0 offen
	buffer_store_dwordx4 v[0:3], v4, s[0:3], 16 offen
	s_endpgm
	.section	.rodata,"a",@progbits
	.p2align	6, 0x0
	.amdhsa_kernel _ZN5aiter55rope_hadamard_rotate_activation_fp4quant_inplace_kernelItLi256ELb1ELi16EEEvPT_PKS1_S4_S4_PKliiiii
		.amdhsa_group_segment_fixed_size 0
		.amdhsa_private_segment_fixed_size 0
		.amdhsa_kernarg_size 60
		.amdhsa_user_sgpr_count 6
		.amdhsa_user_sgpr_private_segment_buffer 1
		.amdhsa_user_sgpr_dispatch_ptr 0
		.amdhsa_user_sgpr_queue_ptr 0
		.amdhsa_user_sgpr_kernarg_segment_ptr 1
		.amdhsa_user_sgpr_dispatch_id 0
		.amdhsa_user_sgpr_flat_scratch_init 0
		.amdhsa_user_sgpr_kernarg_preload_length 0
		.amdhsa_user_sgpr_kernarg_preload_offset 0
		.amdhsa_user_sgpr_private_segment_size 0
		.amdhsa_uses_dynamic_stack 0
		.amdhsa_system_sgpr_private_segment_wavefront_offset 0
		.amdhsa_system_sgpr_workgroup_id_x 1
		.amdhsa_system_sgpr_workgroup_id_y 0
		.amdhsa_system_sgpr_workgroup_id_z 0
		.amdhsa_system_sgpr_workgroup_info 0
		.amdhsa_system_vgpr_workitem_id 0
		.amdhsa_next_free_vgpr 5
		.amdhsa_next_free_sgpr 8
		.amdhsa_accum_offset 8
		.amdhsa_reserve_vcc 0
		.amdhsa_reserve_flat_scratch 0
		.amdhsa_float_round_mode_32 0
		.amdhsa_float_round_mode_16_64 0
		.amdhsa_float_denorm_mode_32 3
		.amdhsa_float_denorm_mode_16_64 3
		.amdhsa_dx10_clamp 1
		.amdhsa_ieee_mode 1
		.amdhsa_fp16_overflow 0
		.amdhsa_tg_split 0
		.amdhsa_exception_fp_ieee_invalid_op 0
		.amdhsa_exception_fp_denorm_src 0
		.amdhsa_exception_fp_ieee_div_zero 0
		.amdhsa_exception_fp_ieee_overflow 0
		.amdhsa_exception_fp_ieee_underflow 0
		.amdhsa_exception_fp_ieee_inexact 0
		.amdhsa_exception_int_div_zero 0
	.end_amdhsa_kernel
	.section	.text._ZN5aiter55rope_hadamard_rotate_activation_fp4quant_inplace_kernelItLi256ELb1ELi16EEEvPT_PKS1_S4_S4_PKliiiii,"axG",@progbits,_ZN5aiter55rope_hadamard_rotate_activation_fp4quant_inplace_kernelItLi256ELb1ELi16EEEvPT_PKS1_S4_S4_PKliiiii,comdat
.Lfunc_end20:
	.size	_ZN5aiter55rope_hadamard_rotate_activation_fp4quant_inplace_kernelItLi256ELb1ELi16EEEvPT_PKS1_S4_S4_PKliiiii, .Lfunc_end20-_ZN5aiter55rope_hadamard_rotate_activation_fp4quant_inplace_kernelItLi256ELb1ELi16EEEvPT_PKS1_S4_S4_PKliiiii
                                        ; -- End function
	.section	.AMDGPU.csdata,"",@progbits
; Kernel info:
; codeLenInByte = 136
; NumSgprs: 12
; NumVgprs: 5
; NumAgprs: 0
; TotalNumVgprs: 5
; ScratchSize: 0
; MemoryBound: 0
; FloatMode: 240
; IeeeMode: 1
; LDSByteSize: 0 bytes/workgroup (compile time only)
; SGPRBlocks: 1
; VGPRBlocks: 0
; NumSGPRsForWavesPerEU: 12
; NumVGPRsForWavesPerEU: 5
; AccumOffset: 8
; Occupancy: 8
; WaveLimiterHint : 0
; COMPUTE_PGM_RSRC2:SCRATCH_EN: 0
; COMPUTE_PGM_RSRC2:USER_SGPR: 6
; COMPUTE_PGM_RSRC2:TRAP_HANDLER: 0
; COMPUTE_PGM_RSRC2:TGID_X_EN: 1
; COMPUTE_PGM_RSRC2:TGID_Y_EN: 0
; COMPUTE_PGM_RSRC2:TGID_Z_EN: 0
; COMPUTE_PGM_RSRC2:TIDIG_COMP_CNT: 0
; COMPUTE_PGM_RSRC3_GFX90A:ACCUM_OFFSET: 1
; COMPUTE_PGM_RSRC3_GFX90A:TG_SPLIT: 0
	.section	.text._ZN5aiter55rope_hadamard_rotate_activation_fp4quant_inplace_kernelIDF16_Li512ELb1ELi16EEEvPT_PKS1_S4_S4_PKliiiii,"axG",@progbits,_ZN5aiter55rope_hadamard_rotate_activation_fp4quant_inplace_kernelIDF16_Li512ELb1ELi16EEEvPT_PKS1_S4_S4_PKliiiii,comdat
	.protected	_ZN5aiter55rope_hadamard_rotate_activation_fp4quant_inplace_kernelIDF16_Li512ELb1ELi16EEEvPT_PKS1_S4_S4_PKliiiii ; -- Begin function _ZN5aiter55rope_hadamard_rotate_activation_fp4quant_inplace_kernelIDF16_Li512ELb1ELi16EEEvPT_PKS1_S4_S4_PKliiiii
	.globl	_ZN5aiter55rope_hadamard_rotate_activation_fp4quant_inplace_kernelIDF16_Li512ELb1ELi16EEEvPT_PKS1_S4_S4_PKliiiii
	.p2align	8
	.type	_ZN5aiter55rope_hadamard_rotate_activation_fp4quant_inplace_kernelIDF16_Li512ELb1ELi16EEEvPT_PKS1_S4_S4_PKliiiii,@function
_ZN5aiter55rope_hadamard_rotate_activation_fp4quant_inplace_kernelIDF16_Li512ELb1ELi16EEEvPT_PKS1_S4_S4_PKliiiii: ; @_ZN5aiter55rope_hadamard_rotate_activation_fp4quant_inplace_kernelIDF16_Li512ELb1ELi16EEEvPT_PKS1_S4_S4_PKliiiii
; %bb.0:
	s_load_dword s2, s[4:5], 0x34
	s_load_dwordx2 s[0:1], s[4:5], 0x0
	s_load_dword s7, s[4:5], 0x28
	s_lshl_b32 s4, s6, 1
	v_lshlrev_b32_e32 v4, 5, v0
	s_waitcnt lgkmcnt(0)
	s_mul_hi_i32 s3, s2, s4
	s_mul_i32 s2, s2, s4
	s_sub_i32 s4, s7, s4
	s_min_i32 s4, s4, 2
	s_lshl_b64 s[2:3], s[2:3], 1
	s_add_u32 s0, s0, s2
	s_addc_u32 s1, s1, s3
	s_lshl_b32 s2, s4, 10
	s_mov_b32 s4, 0
	s_mov_b32 s5, s4
	;; [unrolled: 1-line block ×4, first 2 shown]
	v_pk_mov_b32 v[0:1], s[4:5], s[4:5] op_sel:[0,1]
	s_and_b32 s1, s1, 0xffff
	s_mov_b32 s3, 0x20000
	v_pk_mov_b32 v[2:3], s[6:7], s[6:7] op_sel:[0,1]
	buffer_store_dwordx4 v[0:3], v4, s[0:3], 0 offen
	buffer_store_dwordx4 v[0:3], v4, s[0:3], 16 offen
	s_endpgm
	.section	.rodata,"a",@progbits
	.p2align	6, 0x0
	.amdhsa_kernel _ZN5aiter55rope_hadamard_rotate_activation_fp4quant_inplace_kernelIDF16_Li512ELb1ELi16EEEvPT_PKS1_S4_S4_PKliiiii
		.amdhsa_group_segment_fixed_size 0
		.amdhsa_private_segment_fixed_size 0
		.amdhsa_kernarg_size 60
		.amdhsa_user_sgpr_count 6
		.amdhsa_user_sgpr_private_segment_buffer 1
		.amdhsa_user_sgpr_dispatch_ptr 0
		.amdhsa_user_sgpr_queue_ptr 0
		.amdhsa_user_sgpr_kernarg_segment_ptr 1
		.amdhsa_user_sgpr_dispatch_id 0
		.amdhsa_user_sgpr_flat_scratch_init 0
		.amdhsa_user_sgpr_kernarg_preload_length 0
		.amdhsa_user_sgpr_kernarg_preload_offset 0
		.amdhsa_user_sgpr_private_segment_size 0
		.amdhsa_uses_dynamic_stack 0
		.amdhsa_system_sgpr_private_segment_wavefront_offset 0
		.amdhsa_system_sgpr_workgroup_id_x 1
		.amdhsa_system_sgpr_workgroup_id_y 0
		.amdhsa_system_sgpr_workgroup_id_z 0
		.amdhsa_system_sgpr_workgroup_info 0
		.amdhsa_system_vgpr_workitem_id 0
		.amdhsa_next_free_vgpr 5
		.amdhsa_next_free_sgpr 8
		.amdhsa_accum_offset 8
		.amdhsa_reserve_vcc 0
		.amdhsa_reserve_flat_scratch 0
		.amdhsa_float_round_mode_32 0
		.amdhsa_float_round_mode_16_64 0
		.amdhsa_float_denorm_mode_32 3
		.amdhsa_float_denorm_mode_16_64 3
		.amdhsa_dx10_clamp 1
		.amdhsa_ieee_mode 1
		.amdhsa_fp16_overflow 0
		.amdhsa_tg_split 0
		.amdhsa_exception_fp_ieee_invalid_op 0
		.amdhsa_exception_fp_denorm_src 0
		.amdhsa_exception_fp_ieee_div_zero 0
		.amdhsa_exception_fp_ieee_overflow 0
		.amdhsa_exception_fp_ieee_underflow 0
		.amdhsa_exception_fp_ieee_inexact 0
		.amdhsa_exception_int_div_zero 0
	.end_amdhsa_kernel
	.section	.text._ZN5aiter55rope_hadamard_rotate_activation_fp4quant_inplace_kernelIDF16_Li512ELb1ELi16EEEvPT_PKS1_S4_S4_PKliiiii,"axG",@progbits,_ZN5aiter55rope_hadamard_rotate_activation_fp4quant_inplace_kernelIDF16_Li512ELb1ELi16EEEvPT_PKS1_S4_S4_PKliiiii,comdat
.Lfunc_end21:
	.size	_ZN5aiter55rope_hadamard_rotate_activation_fp4quant_inplace_kernelIDF16_Li512ELb1ELi16EEEvPT_PKS1_S4_S4_PKliiiii, .Lfunc_end21-_ZN5aiter55rope_hadamard_rotate_activation_fp4quant_inplace_kernelIDF16_Li512ELb1ELi16EEEvPT_PKS1_S4_S4_PKliiiii
                                        ; -- End function
	.section	.AMDGPU.csdata,"",@progbits
; Kernel info:
; codeLenInByte = 136
; NumSgprs: 12
; NumVgprs: 5
; NumAgprs: 0
; TotalNumVgprs: 5
; ScratchSize: 0
; MemoryBound: 0
; FloatMode: 240
; IeeeMode: 1
; LDSByteSize: 0 bytes/workgroup (compile time only)
; SGPRBlocks: 1
; VGPRBlocks: 0
; NumSGPRsForWavesPerEU: 12
; NumVGPRsForWavesPerEU: 5
; AccumOffset: 8
; Occupancy: 8
; WaveLimiterHint : 0
; COMPUTE_PGM_RSRC2:SCRATCH_EN: 0
; COMPUTE_PGM_RSRC2:USER_SGPR: 6
; COMPUTE_PGM_RSRC2:TRAP_HANDLER: 0
; COMPUTE_PGM_RSRC2:TGID_X_EN: 1
; COMPUTE_PGM_RSRC2:TGID_Y_EN: 0
; COMPUTE_PGM_RSRC2:TGID_Z_EN: 0
; COMPUTE_PGM_RSRC2:TIDIG_COMP_CNT: 0
; COMPUTE_PGM_RSRC3_GFX90A:ACCUM_OFFSET: 1
; COMPUTE_PGM_RSRC3_GFX90A:TG_SPLIT: 0
	.section	.text._ZN5aiter55rope_hadamard_rotate_activation_fp4quant_inplace_kernelItLi512ELb1ELi16EEEvPT_PKS1_S4_S4_PKliiiii,"axG",@progbits,_ZN5aiter55rope_hadamard_rotate_activation_fp4quant_inplace_kernelItLi512ELb1ELi16EEEvPT_PKS1_S4_S4_PKliiiii,comdat
	.protected	_ZN5aiter55rope_hadamard_rotate_activation_fp4quant_inplace_kernelItLi512ELb1ELi16EEEvPT_PKS1_S4_S4_PKliiiii ; -- Begin function _ZN5aiter55rope_hadamard_rotate_activation_fp4quant_inplace_kernelItLi512ELb1ELi16EEEvPT_PKS1_S4_S4_PKliiiii
	.globl	_ZN5aiter55rope_hadamard_rotate_activation_fp4quant_inplace_kernelItLi512ELb1ELi16EEEvPT_PKS1_S4_S4_PKliiiii
	.p2align	8
	.type	_ZN5aiter55rope_hadamard_rotate_activation_fp4quant_inplace_kernelItLi512ELb1ELi16EEEvPT_PKS1_S4_S4_PKliiiii,@function
_ZN5aiter55rope_hadamard_rotate_activation_fp4quant_inplace_kernelItLi512ELb1ELi16EEEvPT_PKS1_S4_S4_PKliiiii: ; @_ZN5aiter55rope_hadamard_rotate_activation_fp4quant_inplace_kernelItLi512ELb1ELi16EEEvPT_PKS1_S4_S4_PKliiiii
; %bb.0:
	s_load_dword s2, s[4:5], 0x34
	s_load_dwordx2 s[0:1], s[4:5], 0x0
	s_load_dword s7, s[4:5], 0x28
	s_lshl_b32 s4, s6, 1
	v_lshlrev_b32_e32 v4, 5, v0
	s_waitcnt lgkmcnt(0)
	s_mul_hi_i32 s3, s2, s4
	s_mul_i32 s2, s2, s4
	s_sub_i32 s4, s7, s4
	s_min_i32 s4, s4, 2
	s_lshl_b64 s[2:3], s[2:3], 1
	s_add_u32 s0, s0, s2
	s_addc_u32 s1, s1, s3
	s_lshl_b32 s2, s4, 10
	s_mov_b32 s4, 0
	s_mov_b32 s5, s4
	s_mov_b32 s6, s4
	s_mov_b32 s7, s4
	v_pk_mov_b32 v[0:1], s[4:5], s[4:5] op_sel:[0,1]
	s_and_b32 s1, s1, 0xffff
	s_mov_b32 s3, 0x20000
	v_pk_mov_b32 v[2:3], s[6:7], s[6:7] op_sel:[0,1]
	buffer_store_dwordx4 v[0:3], v4, s[0:3], 0 offen
	buffer_store_dwordx4 v[0:3], v4, s[0:3], 16 offen
	s_endpgm
	.section	.rodata,"a",@progbits
	.p2align	6, 0x0
	.amdhsa_kernel _ZN5aiter55rope_hadamard_rotate_activation_fp4quant_inplace_kernelItLi512ELb1ELi16EEEvPT_PKS1_S4_S4_PKliiiii
		.amdhsa_group_segment_fixed_size 0
		.amdhsa_private_segment_fixed_size 0
		.amdhsa_kernarg_size 60
		.amdhsa_user_sgpr_count 6
		.amdhsa_user_sgpr_private_segment_buffer 1
		.amdhsa_user_sgpr_dispatch_ptr 0
		.amdhsa_user_sgpr_queue_ptr 0
		.amdhsa_user_sgpr_kernarg_segment_ptr 1
		.amdhsa_user_sgpr_dispatch_id 0
		.amdhsa_user_sgpr_flat_scratch_init 0
		.amdhsa_user_sgpr_kernarg_preload_length 0
		.amdhsa_user_sgpr_kernarg_preload_offset 0
		.amdhsa_user_sgpr_private_segment_size 0
		.amdhsa_uses_dynamic_stack 0
		.amdhsa_system_sgpr_private_segment_wavefront_offset 0
		.amdhsa_system_sgpr_workgroup_id_x 1
		.amdhsa_system_sgpr_workgroup_id_y 0
		.amdhsa_system_sgpr_workgroup_id_z 0
		.amdhsa_system_sgpr_workgroup_info 0
		.amdhsa_system_vgpr_workitem_id 0
		.amdhsa_next_free_vgpr 5
		.amdhsa_next_free_sgpr 8
		.amdhsa_accum_offset 8
		.amdhsa_reserve_vcc 0
		.amdhsa_reserve_flat_scratch 0
		.amdhsa_float_round_mode_32 0
		.amdhsa_float_round_mode_16_64 0
		.amdhsa_float_denorm_mode_32 3
		.amdhsa_float_denorm_mode_16_64 3
		.amdhsa_dx10_clamp 1
		.amdhsa_ieee_mode 1
		.amdhsa_fp16_overflow 0
		.amdhsa_tg_split 0
		.amdhsa_exception_fp_ieee_invalid_op 0
		.amdhsa_exception_fp_denorm_src 0
		.amdhsa_exception_fp_ieee_div_zero 0
		.amdhsa_exception_fp_ieee_overflow 0
		.amdhsa_exception_fp_ieee_underflow 0
		.amdhsa_exception_fp_ieee_inexact 0
		.amdhsa_exception_int_div_zero 0
	.end_amdhsa_kernel
	.section	.text._ZN5aiter55rope_hadamard_rotate_activation_fp4quant_inplace_kernelItLi512ELb1ELi16EEEvPT_PKS1_S4_S4_PKliiiii,"axG",@progbits,_ZN5aiter55rope_hadamard_rotate_activation_fp4quant_inplace_kernelItLi512ELb1ELi16EEEvPT_PKS1_S4_S4_PKliiiii,comdat
.Lfunc_end22:
	.size	_ZN5aiter55rope_hadamard_rotate_activation_fp4quant_inplace_kernelItLi512ELb1ELi16EEEvPT_PKS1_S4_S4_PKliiiii, .Lfunc_end22-_ZN5aiter55rope_hadamard_rotate_activation_fp4quant_inplace_kernelItLi512ELb1ELi16EEEvPT_PKS1_S4_S4_PKliiiii
                                        ; -- End function
	.section	.AMDGPU.csdata,"",@progbits
; Kernel info:
; codeLenInByte = 136
; NumSgprs: 12
; NumVgprs: 5
; NumAgprs: 0
; TotalNumVgprs: 5
; ScratchSize: 0
; MemoryBound: 0
; FloatMode: 240
; IeeeMode: 1
; LDSByteSize: 0 bytes/workgroup (compile time only)
; SGPRBlocks: 1
; VGPRBlocks: 0
; NumSGPRsForWavesPerEU: 12
; NumVGPRsForWavesPerEU: 5
; AccumOffset: 8
; Occupancy: 8
; WaveLimiterHint : 0
; COMPUTE_PGM_RSRC2:SCRATCH_EN: 0
; COMPUTE_PGM_RSRC2:USER_SGPR: 6
; COMPUTE_PGM_RSRC2:TRAP_HANDLER: 0
; COMPUTE_PGM_RSRC2:TGID_X_EN: 1
; COMPUTE_PGM_RSRC2:TGID_Y_EN: 0
; COMPUTE_PGM_RSRC2:TGID_Z_EN: 0
; COMPUTE_PGM_RSRC2:TIDIG_COMP_CNT: 0
; COMPUTE_PGM_RSRC3_GFX90A:ACCUM_OFFSET: 1
; COMPUTE_PGM_RSRC3_GFX90A:TG_SPLIT: 0
	.section	.text._ZN5aiter55rope_hadamard_rotate_activation_fp4quant_inplace_kernelIDF16_Li1024ELb1ELi32EEEvPT_PKS1_S4_S4_PKliiiii,"axG",@progbits,_ZN5aiter55rope_hadamard_rotate_activation_fp4quant_inplace_kernelIDF16_Li1024ELb1ELi32EEEvPT_PKS1_S4_S4_PKliiiii,comdat
	.protected	_ZN5aiter55rope_hadamard_rotate_activation_fp4quant_inplace_kernelIDF16_Li1024ELb1ELi32EEEvPT_PKS1_S4_S4_PKliiiii ; -- Begin function _ZN5aiter55rope_hadamard_rotate_activation_fp4quant_inplace_kernelIDF16_Li1024ELb1ELi32EEEvPT_PKS1_S4_S4_PKliiiii
	.globl	_ZN5aiter55rope_hadamard_rotate_activation_fp4quant_inplace_kernelIDF16_Li1024ELb1ELi32EEEvPT_PKS1_S4_S4_PKliiiii
	.p2align	8
	.type	_ZN5aiter55rope_hadamard_rotate_activation_fp4quant_inplace_kernelIDF16_Li1024ELb1ELi32EEEvPT_PKS1_S4_S4_PKliiiii,@function
_ZN5aiter55rope_hadamard_rotate_activation_fp4quant_inplace_kernelIDF16_Li1024ELb1ELi32EEEvPT_PKS1_S4_S4_PKliiiii: ; @_ZN5aiter55rope_hadamard_rotate_activation_fp4quant_inplace_kernelIDF16_Li1024ELb1ELi32EEEvPT_PKS1_S4_S4_PKliiiii
; %bb.0:
	s_load_dword s2, s[4:5], 0x34
	s_load_dwordx2 s[0:1], s[4:5], 0x0
	s_load_dword s7, s[4:5], 0x28
	s_lshl_b32 s4, s6, 1
	v_lshlrev_b32_e32 v4, 6, v0
	s_waitcnt lgkmcnt(0)
	s_mul_hi_i32 s3, s2, s4
	s_mul_i32 s2, s2, s4
	s_sub_i32 s4, s7, s4
	s_min_i32 s4, s4, 2
	s_lshl_b64 s[2:3], s[2:3], 1
	s_add_u32 s0, s0, s2
	s_addc_u32 s1, s1, s3
	s_lshl_b32 s2, s4, 11
	s_mov_b32 s4, 0
	s_mov_b32 s5, s4
	;; [unrolled: 1-line block ×4, first 2 shown]
	v_pk_mov_b32 v[0:1], s[4:5], s[4:5] op_sel:[0,1]
	s_and_b32 s1, s1, 0xffff
	s_mov_b32 s3, 0x20000
	v_pk_mov_b32 v[2:3], s[6:7], s[6:7] op_sel:[0,1]
	buffer_store_dwordx4 v[0:3], v4, s[0:3], 0 offen
	buffer_store_dwordx4 v[0:3], v4, s[0:3], 16 offen
	;; [unrolled: 1-line block ×4, first 2 shown]
	s_endpgm
	.section	.rodata,"a",@progbits
	.p2align	6, 0x0
	.amdhsa_kernel _ZN5aiter55rope_hadamard_rotate_activation_fp4quant_inplace_kernelIDF16_Li1024ELb1ELi32EEEvPT_PKS1_S4_S4_PKliiiii
		.amdhsa_group_segment_fixed_size 0
		.amdhsa_private_segment_fixed_size 0
		.amdhsa_kernarg_size 60
		.amdhsa_user_sgpr_count 6
		.amdhsa_user_sgpr_private_segment_buffer 1
		.amdhsa_user_sgpr_dispatch_ptr 0
		.amdhsa_user_sgpr_queue_ptr 0
		.amdhsa_user_sgpr_kernarg_segment_ptr 1
		.amdhsa_user_sgpr_dispatch_id 0
		.amdhsa_user_sgpr_flat_scratch_init 0
		.amdhsa_user_sgpr_kernarg_preload_length 0
		.amdhsa_user_sgpr_kernarg_preload_offset 0
		.amdhsa_user_sgpr_private_segment_size 0
		.amdhsa_uses_dynamic_stack 0
		.amdhsa_system_sgpr_private_segment_wavefront_offset 0
		.amdhsa_system_sgpr_workgroup_id_x 1
		.amdhsa_system_sgpr_workgroup_id_y 0
		.amdhsa_system_sgpr_workgroup_id_z 0
		.amdhsa_system_sgpr_workgroup_info 0
		.amdhsa_system_vgpr_workitem_id 0
		.amdhsa_next_free_vgpr 5
		.amdhsa_next_free_sgpr 8
		.amdhsa_accum_offset 8
		.amdhsa_reserve_vcc 0
		.amdhsa_reserve_flat_scratch 0
		.amdhsa_float_round_mode_32 0
		.amdhsa_float_round_mode_16_64 0
		.amdhsa_float_denorm_mode_32 3
		.amdhsa_float_denorm_mode_16_64 3
		.amdhsa_dx10_clamp 1
		.amdhsa_ieee_mode 1
		.amdhsa_fp16_overflow 0
		.amdhsa_tg_split 0
		.amdhsa_exception_fp_ieee_invalid_op 0
		.amdhsa_exception_fp_denorm_src 0
		.amdhsa_exception_fp_ieee_div_zero 0
		.amdhsa_exception_fp_ieee_overflow 0
		.amdhsa_exception_fp_ieee_underflow 0
		.amdhsa_exception_fp_ieee_inexact 0
		.amdhsa_exception_int_div_zero 0
	.end_amdhsa_kernel
	.section	.text._ZN5aiter55rope_hadamard_rotate_activation_fp4quant_inplace_kernelIDF16_Li1024ELb1ELi32EEEvPT_PKS1_S4_S4_PKliiiii,"axG",@progbits,_ZN5aiter55rope_hadamard_rotate_activation_fp4quant_inplace_kernelIDF16_Li1024ELb1ELi32EEEvPT_PKS1_S4_S4_PKliiiii,comdat
.Lfunc_end23:
	.size	_ZN5aiter55rope_hadamard_rotate_activation_fp4quant_inplace_kernelIDF16_Li1024ELb1ELi32EEEvPT_PKS1_S4_S4_PKliiiii, .Lfunc_end23-_ZN5aiter55rope_hadamard_rotate_activation_fp4quant_inplace_kernelIDF16_Li1024ELb1ELi32EEEvPT_PKS1_S4_S4_PKliiiii
                                        ; -- End function
	.section	.AMDGPU.csdata,"",@progbits
; Kernel info:
; codeLenInByte = 152
; NumSgprs: 12
; NumVgprs: 5
; NumAgprs: 0
; TotalNumVgprs: 5
; ScratchSize: 0
; MemoryBound: 0
; FloatMode: 240
; IeeeMode: 1
; LDSByteSize: 0 bytes/workgroup (compile time only)
; SGPRBlocks: 1
; VGPRBlocks: 0
; NumSGPRsForWavesPerEU: 12
; NumVGPRsForWavesPerEU: 5
; AccumOffset: 8
; Occupancy: 8
; WaveLimiterHint : 0
; COMPUTE_PGM_RSRC2:SCRATCH_EN: 0
; COMPUTE_PGM_RSRC2:USER_SGPR: 6
; COMPUTE_PGM_RSRC2:TRAP_HANDLER: 0
; COMPUTE_PGM_RSRC2:TGID_X_EN: 1
; COMPUTE_PGM_RSRC2:TGID_Y_EN: 0
; COMPUTE_PGM_RSRC2:TGID_Z_EN: 0
; COMPUTE_PGM_RSRC2:TIDIG_COMP_CNT: 0
; COMPUTE_PGM_RSRC3_GFX90A:ACCUM_OFFSET: 1
; COMPUTE_PGM_RSRC3_GFX90A:TG_SPLIT: 0
	.section	.text._ZN5aiter55rope_hadamard_rotate_activation_fp4quant_inplace_kernelItLi1024ELb1ELi32EEEvPT_PKS1_S4_S4_PKliiiii,"axG",@progbits,_ZN5aiter55rope_hadamard_rotate_activation_fp4quant_inplace_kernelItLi1024ELb1ELi32EEEvPT_PKS1_S4_S4_PKliiiii,comdat
	.protected	_ZN5aiter55rope_hadamard_rotate_activation_fp4quant_inplace_kernelItLi1024ELb1ELi32EEEvPT_PKS1_S4_S4_PKliiiii ; -- Begin function _ZN5aiter55rope_hadamard_rotate_activation_fp4quant_inplace_kernelItLi1024ELb1ELi32EEEvPT_PKS1_S4_S4_PKliiiii
	.globl	_ZN5aiter55rope_hadamard_rotate_activation_fp4quant_inplace_kernelItLi1024ELb1ELi32EEEvPT_PKS1_S4_S4_PKliiiii
	.p2align	8
	.type	_ZN5aiter55rope_hadamard_rotate_activation_fp4quant_inplace_kernelItLi1024ELb1ELi32EEEvPT_PKS1_S4_S4_PKliiiii,@function
_ZN5aiter55rope_hadamard_rotate_activation_fp4quant_inplace_kernelItLi1024ELb1ELi32EEEvPT_PKS1_S4_S4_PKliiiii: ; @_ZN5aiter55rope_hadamard_rotate_activation_fp4quant_inplace_kernelItLi1024ELb1ELi32EEEvPT_PKS1_S4_S4_PKliiiii
; %bb.0:
	s_load_dword s2, s[4:5], 0x34
	s_load_dwordx2 s[0:1], s[4:5], 0x0
	s_load_dword s7, s[4:5], 0x28
	s_lshl_b32 s4, s6, 1
	v_lshlrev_b32_e32 v4, 6, v0
	s_waitcnt lgkmcnt(0)
	s_mul_hi_i32 s3, s2, s4
	s_mul_i32 s2, s2, s4
	s_sub_i32 s4, s7, s4
	s_min_i32 s4, s4, 2
	s_lshl_b64 s[2:3], s[2:3], 1
	s_add_u32 s0, s0, s2
	s_addc_u32 s1, s1, s3
	s_lshl_b32 s2, s4, 11
	s_mov_b32 s4, 0
	s_mov_b32 s5, s4
	s_mov_b32 s6, s4
	s_mov_b32 s7, s4
	v_pk_mov_b32 v[0:1], s[4:5], s[4:5] op_sel:[0,1]
	s_and_b32 s1, s1, 0xffff
	s_mov_b32 s3, 0x20000
	v_pk_mov_b32 v[2:3], s[6:7], s[6:7] op_sel:[0,1]
	buffer_store_dwordx4 v[0:3], v4, s[0:3], 0 offen
	buffer_store_dwordx4 v[0:3], v4, s[0:3], 16 offen
	;; [unrolled: 1-line block ×4, first 2 shown]
	s_endpgm
	.section	.rodata,"a",@progbits
	.p2align	6, 0x0
	.amdhsa_kernel _ZN5aiter55rope_hadamard_rotate_activation_fp4quant_inplace_kernelItLi1024ELb1ELi32EEEvPT_PKS1_S4_S4_PKliiiii
		.amdhsa_group_segment_fixed_size 0
		.amdhsa_private_segment_fixed_size 0
		.amdhsa_kernarg_size 60
		.amdhsa_user_sgpr_count 6
		.amdhsa_user_sgpr_private_segment_buffer 1
		.amdhsa_user_sgpr_dispatch_ptr 0
		.amdhsa_user_sgpr_queue_ptr 0
		.amdhsa_user_sgpr_kernarg_segment_ptr 1
		.amdhsa_user_sgpr_dispatch_id 0
		.amdhsa_user_sgpr_flat_scratch_init 0
		.amdhsa_user_sgpr_kernarg_preload_length 0
		.amdhsa_user_sgpr_kernarg_preload_offset 0
		.amdhsa_user_sgpr_private_segment_size 0
		.amdhsa_uses_dynamic_stack 0
		.amdhsa_system_sgpr_private_segment_wavefront_offset 0
		.amdhsa_system_sgpr_workgroup_id_x 1
		.amdhsa_system_sgpr_workgroup_id_y 0
		.amdhsa_system_sgpr_workgroup_id_z 0
		.amdhsa_system_sgpr_workgroup_info 0
		.amdhsa_system_vgpr_workitem_id 0
		.amdhsa_next_free_vgpr 5
		.amdhsa_next_free_sgpr 8
		.amdhsa_accum_offset 8
		.amdhsa_reserve_vcc 0
		.amdhsa_reserve_flat_scratch 0
		.amdhsa_float_round_mode_32 0
		.amdhsa_float_round_mode_16_64 0
		.amdhsa_float_denorm_mode_32 3
		.amdhsa_float_denorm_mode_16_64 3
		.amdhsa_dx10_clamp 1
		.amdhsa_ieee_mode 1
		.amdhsa_fp16_overflow 0
		.amdhsa_tg_split 0
		.amdhsa_exception_fp_ieee_invalid_op 0
		.amdhsa_exception_fp_denorm_src 0
		.amdhsa_exception_fp_ieee_div_zero 0
		.amdhsa_exception_fp_ieee_overflow 0
		.amdhsa_exception_fp_ieee_underflow 0
		.amdhsa_exception_fp_ieee_inexact 0
		.amdhsa_exception_int_div_zero 0
	.end_amdhsa_kernel
	.section	.text._ZN5aiter55rope_hadamard_rotate_activation_fp4quant_inplace_kernelItLi1024ELb1ELi32EEEvPT_PKS1_S4_S4_PKliiiii,"axG",@progbits,_ZN5aiter55rope_hadamard_rotate_activation_fp4quant_inplace_kernelItLi1024ELb1ELi32EEEvPT_PKS1_S4_S4_PKliiiii,comdat
.Lfunc_end24:
	.size	_ZN5aiter55rope_hadamard_rotate_activation_fp4quant_inplace_kernelItLi1024ELb1ELi32EEEvPT_PKS1_S4_S4_PKliiiii, .Lfunc_end24-_ZN5aiter55rope_hadamard_rotate_activation_fp4quant_inplace_kernelItLi1024ELb1ELi32EEEvPT_PKS1_S4_S4_PKliiiii
                                        ; -- End function
	.section	.AMDGPU.csdata,"",@progbits
; Kernel info:
; codeLenInByte = 152
; NumSgprs: 12
; NumVgprs: 5
; NumAgprs: 0
; TotalNumVgprs: 5
; ScratchSize: 0
; MemoryBound: 0
; FloatMode: 240
; IeeeMode: 1
; LDSByteSize: 0 bytes/workgroup (compile time only)
; SGPRBlocks: 1
; VGPRBlocks: 0
; NumSGPRsForWavesPerEU: 12
; NumVGPRsForWavesPerEU: 5
; AccumOffset: 8
; Occupancy: 8
; WaveLimiterHint : 0
; COMPUTE_PGM_RSRC2:SCRATCH_EN: 0
; COMPUTE_PGM_RSRC2:USER_SGPR: 6
; COMPUTE_PGM_RSRC2:TRAP_HANDLER: 0
; COMPUTE_PGM_RSRC2:TGID_X_EN: 1
; COMPUTE_PGM_RSRC2:TGID_Y_EN: 0
; COMPUTE_PGM_RSRC2:TGID_Z_EN: 0
; COMPUTE_PGM_RSRC2:TIDIG_COMP_CNT: 0
; COMPUTE_PGM_RSRC3_GFX90A:ACCUM_OFFSET: 1
; COMPUTE_PGM_RSRC3_GFX90A:TG_SPLIT: 0
	.section	.text._ZN5aiter55rope_hadamard_rotate_activation_fp4quant_inplace_kernelIDF16_Li128ELb0ELi16EEEvPT_PKS1_S4_S4_PKliiiii,"axG",@progbits,_ZN5aiter55rope_hadamard_rotate_activation_fp4quant_inplace_kernelIDF16_Li128ELb0ELi16EEEvPT_PKS1_S4_S4_PKliiiii,comdat
	.protected	_ZN5aiter55rope_hadamard_rotate_activation_fp4quant_inplace_kernelIDF16_Li128ELb0ELi16EEEvPT_PKS1_S4_S4_PKliiiii ; -- Begin function _ZN5aiter55rope_hadamard_rotate_activation_fp4quant_inplace_kernelIDF16_Li128ELb0ELi16EEEvPT_PKS1_S4_S4_PKliiiii
	.globl	_ZN5aiter55rope_hadamard_rotate_activation_fp4quant_inplace_kernelIDF16_Li128ELb0ELi16EEEvPT_PKS1_S4_S4_PKliiiii
	.p2align	8
	.type	_ZN5aiter55rope_hadamard_rotate_activation_fp4quant_inplace_kernelIDF16_Li128ELb0ELi16EEEvPT_PKS1_S4_S4_PKliiiii,@function
_ZN5aiter55rope_hadamard_rotate_activation_fp4quant_inplace_kernelIDF16_Li128ELb0ELi16EEEvPT_PKS1_S4_S4_PKliiiii: ; @_ZN5aiter55rope_hadamard_rotate_activation_fp4quant_inplace_kernelIDF16_Li128ELb0ELi16EEEvPT_PKS1_S4_S4_PKliiiii
; %bb.0:
	s_load_dwordx4 s[8:11], s[4:5], 0x28
	s_load_dwordx4 s[0:3], s[4:5], 0x0
	s_lshl_b32 s14, s6, 3
	s_mov_b32 s19, 0x20000
	v_lshlrev_b32_e32 v1, 5, v0
	s_waitcnt lgkmcnt(0)
	s_sub_i32 s6, s8, s14
	s_min_i32 s12, s6, 8
	s_mul_hi_i32 s7, s11, s14
	s_mul_i32 s6, s11, s14
	s_sub_i32 s13, 0x80, s10
	s_lshl_b64 s[6:7], s[6:7], 1
	s_add_u32 s16, s2, s6
	s_addc_u32 s2, s3, s7
	s_mul_i32 s3, s12, s11
	s_lshl_b32 s18, s3, 1
	s_and_b32 s17, s2, 0xffff
	buffer_load_dwordx4 v[6:9], v1, s[16:19], 0 offen
	buffer_load_dwordx4 v[2:5], v1, s[16:19], 16 offen
	v_lshrrev_b32_e32 v13, 3, v0
	v_lshlrev_b32_e32 v11, 4, v0
	v_lshlrev_b32_e32 v15, 7, v13
	v_sub_u32_e32 v11, v11, v15
	v_cmp_le_i32_e32 vcc, s13, v11
	s_waitcnt vmcnt(1)
	v_cvt_f32_f16_sdwa v29, v6 dst_sel:DWORD dst_unused:UNUSED_PAD src0_sel:WORD_1
	v_cvt_f32_f16_sdwa v28, v7 dst_sel:DWORD dst_unused:UNUSED_PAD src0_sel:WORD_1
	v_cvt_f32_f16_e32 v30, v7
	v_cvt_f32_f16_sdwa v25, v8 dst_sel:DWORD dst_unused:UNUSED_PAD src0_sel:WORD_1
	v_cvt_f32_f16_e32 v27, v8
	;; [unrolled: 2-line block ×3, first 2 shown]
	s_waitcnt vmcnt(0)
	v_cvt_f32_f16_sdwa v20, v2 dst_sel:DWORD dst_unused:UNUSED_PAD src0_sel:WORD_1
	v_cvt_f32_f16_sdwa v22, v3 dst_sel:DWORD dst_unused:UNUSED_PAD src0_sel:WORD_1
	v_cvt_f32_f16_e32 v12, v3
	v_cvt_f32_f16_sdwa v14, v4 dst_sel:DWORD dst_unused:UNUSED_PAD src0_sel:WORD_1
	v_cvt_f32_f16_e32 v10, v4
	;; [unrolled: 2-line block ×3, first 2 shown]
	s_and_saveexec_b64 s[2:3], vcc
	s_xor_b64 s[2:3], exec, s[2:3]
	s_cbranch_execz .LBB25_2
; %bb.1:
	v_add_u32_e32 v10, s14, v13
	s_add_i32 s11, s8, -1
	s_load_dwordx2 s[16:17], s[4:5], 0x20
	v_mov_b32_e32 v12, s11
	v_cmp_gt_i32_e32 vcc, s8, v10
	v_cndmask_b32_e32 v10, v12, v10, vcc
	s_ff1_i32_b32 s8, s9
	v_ashrrev_i32_e32 v12, s8, v10
	v_ashrrev_i32_e32 v13, 31, v12
	v_lshlrev_b64 v[12:13], 3, v[12:13]
	s_waitcnt lgkmcnt(0)
	v_mov_b32_e32 v10, s17
	v_add_co_u32_e32 v12, vcc, s16, v12
	v_addc_co_u32_e32 v13, vcc, v10, v13, vcc
	global_load_dwordx2 v[12:13], v[12:13], off
	s_load_dwordx4 s[16:19], s[4:5], 0x10
	s_lshr_b32 s4, s10, 31
	s_add_i32 s4, s10, s4
	s_ashr_i32 s4, s4, 1
	s_ashr_i32 s5, s4, 31
	v_subrev_u32_e32 v10, s13, v11
	v_lshrrev_b32_e32 v11, 31, v10
	v_add_u32_e32 v10, v10, v11
	s_waitcnt lgkmcnt(0)
	v_mov_b32_e32 v14, s17
	v_ashrrev_i32_e32 v10, 1, v10
	v_ashrrev_i32_e32 v11, 31, v10
	v_mov_b32_e32 v15, s19
	v_lshlrev_b64 v[10:11], 1, v[10:11]
	v_cvt_f32_f16_sdwa v25, v6 dst_sel:DWORD dst_unused:UNUSED_PAD src0_sel:WORD_1
	v_cvt_f32_f16_sdwa v44, v2 dst_sel:DWORD dst_unused:UNUSED_PAD src0_sel:WORD_1
	;; [unrolled: 1-line block ×3, first 2 shown]
	v_cvt_f32_f16_e32 v32, v3
	v_cvt_f32_f16_sdwa v35, v4 dst_sel:DWORD dst_unused:UNUSED_PAD src0_sel:WORD_1
	v_cvt_f32_f16_e32 v22, v9
	v_cvt_f32_f16_sdwa v37, v5 dst_sel:DWORD dst_unused:UNUSED_PAD src0_sel:WORD_1
	v_cvt_f32_f16_e32 v34, v4
	v_cvt_f32_f16_e32 v36, v5
	v_cvt_f32_f16_sdwa v23, v9 dst_sel:DWORD dst_unused:UNUSED_PAD src0_sel:WORD_1
	v_mov_b32_e32 v4, v35
	v_mov_b32_e32 v24, v37
	s_waitcnt vmcnt(0)
	v_mul_lo_u32 v16, v13, s4
	v_mul_lo_u32 v17, v12, s5
	v_mad_u64_u32 v[12:13], s[4:5], v12, s4, 0
	v_add3_u32 v13, v13, v17, v16
	v_lshlrev_b64 v[12:13], 1, v[12:13]
	v_add_co_u32_e32 v16, vcc, s16, v12
	v_addc_co_u32_e32 v14, vcc, v14, v13, vcc
	v_add_co_u32_e32 v12, vcc, s18, v12
	v_addc_co_u32_e32 v13, vcc, v15, v13, vcc
	;; [unrolled: 2-line block ×4, first 2 shown]
	global_load_dwordx4 v[14:17], v[18:19], off
	global_load_dwordx4 v[10:13], v[20:21], off
	v_cvt_f32_f16_sdwa v19, v7 dst_sel:DWORD dst_unused:UNUSED_PAD src0_sel:WORD_1
	v_cvt_f32_f16_e32 v18, v7
	v_cvt_f32_f16_sdwa v21, v8 dst_sel:DWORD dst_unused:UNUSED_PAD src0_sel:WORD_1
	v_cvt_f32_f16_e32 v20, v8
	s_waitcnt vmcnt(1)
	v_cvt_f32_f16_e32 v29, v15
	s_waitcnt vmcnt(0)
	v_cvt_f32_f16_e32 v45, v10
	v_cvt_f32_f16_sdwa v31, v15 dst_sel:DWORD dst_unused:UNUSED_PAD src0_sel:WORD_1
	v_cvt_f32_f16_e32 v15, v16
	v_cvt_f32_f16_e32 v46, v12
	v_cvt_f32_f16_sdwa v39, v16 dst_sel:DWORD dst_unused:UNUSED_PAD src0_sel:WORD_1
	v_cvt_f32_f16_sdwa v38, v12 dst_sel:DWORD dst_unused:UNUSED_PAD src0_sel:WORD_1
	v_cvt_f32_f16_e32 v5, v14
	v_cvt_f32_f16_sdwa v27, v14 dst_sel:DWORD dst_unused:UNUSED_PAD src0_sel:WORD_1
	v_cvt_f32_f16_sdwa v26, v10 dst_sel:DWORD dst_unused:UNUSED_PAD src0_sel:WORD_1
	v_cvt_f32_f16_e32 v28, v11
	v_cvt_f32_f16_e32 v41, v17
	;; [unrolled: 1-line block ×3, first 2 shown]
	v_cvt_f32_f16_sdwa v43, v17 dst_sel:DWORD dst_unused:UNUSED_PAD src0_sel:WORD_1
	v_cvt_f32_f16_sdwa v42, v13 dst_sel:DWORD dst_unused:UNUSED_PAD src0_sel:WORD_1
	;; [unrolled: 1-line block ×3, first 2 shown]
	v_mul_f32_e32 v13, v45, v25
	v_mul_f32_e32 v53, v46, v44
	;; [unrolled: 1-line block ×3, first 2 shown]
	v_pk_mul_f32 v[44:45], v[38:39], v[32:33]
	v_mul_f32_e32 v17, v5, v25
	v_mul_f32_e32 v25, v27, v18
	v_pk_mul_f32 v[18:19], v[26:27], v[18:19]
	v_mul_f32_e32 v26, v29, v20
	v_pk_mul_f32 v[20:21], v[28:29], v[20:21]
	v_mul_f32_e32 v52, v31, v22
	v_mov_b32_e32 v44, v41
	v_pk_mul_f32 v[4:5], v[4:5], v[40:41] op_sel_hi:[0,1]
	v_pk_mul_f32 v[46:47], v[40:41], v[34:35]
	v_pk_mul_f32 v[50:51], v[42:43], v[36:37]
	;; [unrolled: 1-line block ×3, first 2 shown]
	v_mov_b32_e32 v46, v43
	v_pk_mul_f32 v[48:49], v[24:25], v[42:43] op_sel_hi:[0,1]
	v_mul_f32_e32 v50, v39, v32
	v_fma_mix_f32 v31, v14, v6, -v13 op_sel_hi:[1,1,0]
	v_fma_mix_f32 v29, v10, v6, v17 op_sel_hi:[1,1,0]
	v_fma_mix_f32 v30, -v7, v10, v25 op_sel:[1,1,0] op_sel_hi:[1,1,0]
	v_fma_mix_f32 v27, -v8, v11, v26 op_sel:[1,0,0] op_sel_hi:[1,1,0]
	v_add_f32_e32 v25, v20, v21
	v_fma_mix_f32 v26, -v9, v11, v52 op_sel:[1,1,0] op_sel_hi:[1,1,0]
	v_fma_mix_f32 v13, v16, v2, -v53 op_sel_hi:[1,1,0]
	v_fma_mix_f32 v20, v12, v2, v15 op_sel_hi:[1,1,0]
	v_mov_b32_e32 v2, v45
	v_pk_fma_f32 v[10:11], v[44:45], v[34:35], v[4:5] op_sel_hi:[0,1,1] neg_lo:[0,0,1] neg_hi:[0,0,1]
	v_mov_b32_e32 v4, v47
	v_mov_b32_e32 v6, v51
	v_add_f32_e32 v28, v18, v19
	v_add_f32_e32 v24, v22, v23
	v_pk_fma_f32 v[16:17], v[46:47], v[36:37], v[48:49] op_sel_hi:[0,1,1] neg_lo:[0,0,1] neg_hi:[0,0,1]
	v_pk_fma_f32 v[22:23], v[38:39], v[32:33], v[2:3]
	v_pk_fma_f32 v[14:15], v[40:41], v[34:35], v[4:5]
	;; [unrolled: 1-line block ×3, first 2 shown]
	v_fma_mix_f32 v12, -v3, v12, v50 op_sel:[1,1,0] op_sel_hi:[1,1,0]
                                        ; implicit-def: $vgpr6_vgpr7_vgpr8_vgpr9
                                        ; implicit-def: $vgpr2_vgpr3_vgpr4_vgpr5
.LBB25_2:
	s_andn2_saveexec_b64 s[2:3], s[2:3]
; %bb.3:
	v_cvt_f32_f16_e32 v31, v6
	v_cvt_f32_f16_e32 v13, v2
; %bb.4:
	s_or_b64 exec, exec, s[2:3]
	v_mov_b32_e32 v6, v29
	v_mov_b32_e32 v7, v30
	;; [unrolled: 1-line block ×4, first 2 shown]
	v_pk_add_f32 v[2:3], v[30:31], v[28:29]
	v_pk_add_f32 v[4:5], v[30:31], v[28:29] neg_lo:[0,1] neg_hi:[0,1]
	v_pk_add_f32 v[28:29], v[6:7], v[8:9]
	v_pk_add_f32 v[6:7], v[6:7], v[8:9] neg_lo:[0,1] neg_hi:[0,1]
	;; [unrolled: 2-line block ×3, first 2 shown]
	v_mov_b32_e32 v32, v25
	v_mov_b32_e32 v33, v26
	;; [unrolled: 1-line block ×5, first 2 shown]
	v_pk_add_f32 v[24:25], v[32:33], v[26:27]
	v_pk_add_f32 v[26:27], v[32:33], v[26:27] neg_lo:[0,1] neg_hi:[0,1]
	v_pk_add_f32 v[32:33], v[12:13], v[22:23]
	v_pk_add_f32 v[34:35], v[12:13], v[22:23] neg_lo:[0,1] neg_hi:[0,1]
	v_mov_b32_e32 v21, v12
	v_mov_b32_e32 v12, v13
	;; [unrolled: 1-line block ×7, first 2 shown]
	v_pk_add_f32 v[22:23], v[20:21], v[12:13]
	v_pk_add_f32 v[12:13], v[20:21], v[12:13] neg_lo:[0,1] neg_hi:[0,1]
	v_pk_add_f32 v[20:21], v[16:17], v[18:19]
	v_pk_add_f32 v[36:37], v[16:17], v[18:19] neg_lo:[0,1] neg_hi:[0,1]
	;; [unrolled: 2-line block ×3, first 2 shown]
	v_mov_b32_e32 v3, v5
	v_mov_b32_e32 v29, v7
	;; [unrolled: 1-line block ×8, first 2 shown]
	v_pk_add_f32 v[14:15], v[28:29], v[2:3]
	v_pk_add_f32 v[18:19], v[24:25], v[8:9]
	;; [unrolled: 1-line block ×4, first 2 shown]
	v_mov_b32_e32 v29, v5
	v_mov_b32_e32 v3, v7
	;; [unrolled: 1-line block ×8, first 2 shown]
	v_pk_add_f32 v[2:3], v[28:29], v[2:3] neg_lo:[0,1] neg_hi:[0,1]
	v_pk_add_f32 v[4:5], v[24:25], v[8:9] neg_lo:[0,1] neg_hi:[0,1]
	;; [unrolled: 1-line block ×4, first 2 shown]
	v_pk_add_f32 v[42:43], v[14:15], v[18:19]
	v_pk_add_f32 v[44:45], v[38:39], v[40:41]
	;; [unrolled: 1-line block ×3, first 2 shown]
	v_pk_add_f32 v[2:3], v[2:3], v[4:5] neg_lo:[0,1] neg_hi:[0,1]
	v_pk_add_f32 v[4:5], v[6:7], v[8:9] neg_lo:[0,1] neg_hi:[0,1]
	v_pk_add_f32 v[46:47], v[42:43], v[44:45]
	v_pk_add_f32 v[12:13], v[6:7], v[8:9]
	;; [unrolled: 1-line block ×3, first 2 shown]
	v_pk_add_f32 v[2:3], v[2:3], v[4:5] neg_lo:[0,1] neg_hi:[0,1]
	v_and_b32_e32 v4, 1, v0
	v_sub_f32_dpp v5, v46, v46 quad_perm:[1,0,3,2] row_mask:0xf bank_mask:0xf bound_ctrl:1
	v_add_f32_dpp v8, v46, v46 quad_perm:[1,0,3,2] row_mask:0xf bank_mask:0xf bound_ctrl:1
	v_cmp_eq_u32_e32 vcc, 0, v4
	v_pk_add_f32 v[16:17], v[10:11], v[12:13]
	v_cndmask_b32_e32 v4, v5, v8, vcc
	v_sub_f32_dpp v5, v47, v47 quad_perm:[1,0,3,2] row_mask:0xf bank_mask:0xf bound_ctrl:1
	v_add_f32_dpp v8, v47, v47 quad_perm:[1,0,3,2] row_mask:0xf bank_mask:0xf bound_ctrl:1
	v_pk_add_f32 v[10:11], v[10:11], v[12:13] neg_lo:[0,1] neg_hi:[0,1]
	v_pk_add_f32 v[12:13], v[14:15], v[18:19] neg_lo:[0,1] neg_hi:[0,1]
	;; [unrolled: 1-line block ×3, first 2 shown]
	v_cndmask_b32_e32 v5, v5, v8, vcc
	v_sub_f32_dpp v8, v16, v16 quad_perm:[1,0,3,2] row_mask:0xf bank_mask:0xf bound_ctrl:1
	v_add_f32_dpp v9, v16, v16 quad_perm:[1,0,3,2] row_mask:0xf bank_mask:0xf bound_ctrl:1
	v_pk_add_f32 v[18:19], v[12:13], v[14:15]
	v_pk_add_f32 v[12:13], v[12:13], v[14:15] neg_lo:[0,1] neg_hi:[0,1]
	v_cndmask_b32_e32 v8, v8, v9, vcc
	v_sub_f32_dpp v9, v17, v17 quad_perm:[1,0,3,2] row_mask:0xf bank_mask:0xf bound_ctrl:1
	v_add_f32_dpp v14, v17, v17 quad_perm:[1,0,3,2] row_mask:0xf bank_mask:0xf bound_ctrl:1
	v_cndmask_b32_e32 v9, v9, v14, vcc
	v_add_f32_dpp v15, v18, v18 quad_perm:[1,0,3,2] row_mask:0xf bank_mask:0xf bound_ctrl:1
	v_sub_f32_dpp v14, v18, v18 quad_perm:[1,0,3,2] row_mask:0xf bank_mask:0xf bound_ctrl:1
	v_cndmask_b32_e32 v14, v14, v15, vcc
	v_sub_f32_dpp v15, v19, v19 quad_perm:[1,0,3,2] row_mask:0xf bank_mask:0xf bound_ctrl:1
	v_add_f32_dpp v16, v19, v19 quad_perm:[1,0,3,2] row_mask:0xf bank_mask:0xf bound_ctrl:1
	v_cndmask_b32_e32 v15, v15, v16, vcc
	v_pk_add_f32 v[42:43], v[42:43], v[44:45] neg_lo:[0,1] neg_hi:[0,1]
	v_sub_f32_dpp v16, v6, v6 quad_perm:[1,0,3,2] row_mask:0xf bank_mask:0xf bound_ctrl:1
	v_add_f32_dpp v6, v6, v6 quad_perm:[1,0,3,2] row_mask:0xf bank_mask:0xf bound_ctrl:1
	v_cndmask_b32_e32 v6, v16, v6, vcc
	v_sub_f32_dpp v16, v7, v7 quad_perm:[1,0,3,2] row_mask:0xf bank_mask:0xf bound_ctrl:1
	v_add_f32_dpp v7, v7, v7 quad_perm:[1,0,3,2] row_mask:0xf bank_mask:0xf bound_ctrl:1
	v_cndmask_b32_e32 v7, v16, v7, vcc
	;; [unrolled: 3-line block ×3, first 2 shown]
	v_add_f32_dpp v18, v43, v43 quad_perm:[1,0,3,2] row_mask:0xf bank_mask:0xf bound_ctrl:1
	v_sub_f32_dpp v17, v43, v43 quad_perm:[1,0,3,2] row_mask:0xf bank_mask:0xf bound_ctrl:1
	v_cndmask_b32_e32 v17, v17, v18, vcc
	v_sub_f32_dpp v18, v10, v10 quad_perm:[1,0,3,2] row_mask:0xf bank_mask:0xf bound_ctrl:1
	v_add_f32_dpp v10, v10, v10 quad_perm:[1,0,3,2] row_mask:0xf bank_mask:0xf bound_ctrl:1
	v_cndmask_b32_e32 v10, v18, v10, vcc
	v_sub_f32_dpp v18, v11, v11 quad_perm:[1,0,3,2] row_mask:0xf bank_mask:0xf bound_ctrl:1
	v_add_f32_dpp v11, v11, v11 quad_perm:[1,0,3,2] row_mask:0xf bank_mask:0xf bound_ctrl:1
	;; [unrolled: 3-line block ×6, first 2 shown]
	v_cndmask_b32_e32 v3, v18, v3, vcc
	v_and_b32_e32 v18, 2, v0
	v_cmp_eq_u32_e32 vcc, 0, v18
	v_sub_f32_dpp v19, v4, v4 quad_perm:[2,3,0,1] row_mask:0xf bank_mask:0xf bound_ctrl:1
	v_sub_f32_dpp v18, v5, v5 quad_perm:[2,3,0,1] row_mask:0xf bank_mask:0xf bound_ctrl:1
	v_add_f32_dpp v5, v5, v5 quad_perm:[2,3,0,1] row_mask:0xf bank_mask:0xf bound_ctrl:1
	v_cndmask_b32_e32 v5, v18, v5, vcc
	v_sub_f32_dpp v18, v8, v8 quad_perm:[2,3,0,1] row_mask:0xf bank_mask:0xf bound_ctrl:1
	v_add_f32_dpp v8, v8, v8 quad_perm:[2,3,0,1] row_mask:0xf bank_mask:0xf bound_ctrl:1
	v_cndmask_b32_e32 v8, v18, v8, vcc
	;; [unrolled: 3-line block ×5, first 2 shown]
	v_sub_f32_dpp v18, v6, v6 quad_perm:[2,3,0,1] row_mask:0xf bank_mask:0xf bound_ctrl:1
	v_add_f32_dpp v6, v6, v6 quad_perm:[2,3,0,1] row_mask:0xf bank_mask:0xf bound_ctrl:1
	v_add_f32_dpp v4, v4, v4 quad_perm:[2,3,0,1] row_mask:0xf bank_mask:0xf bound_ctrl:1
	v_cndmask_b32_e32 v18, v18, v6, vcc
	v_sub_f32_dpp v6, v7, v7 quad_perm:[2,3,0,1] row_mask:0xf bank_mask:0xf bound_ctrl:1
	v_add_f32_dpp v7, v7, v7 quad_perm:[2,3,0,1] row_mask:0xf bank_mask:0xf bound_ctrl:1
	v_cndmask_b32_e32 v4, v19, v4, vcc
	v_cndmask_b32_e32 v19, v6, v7, vcc
	v_sub_f32_dpp v6, v16, v16 quad_perm:[2,3,0,1] row_mask:0xf bank_mask:0xf bound_ctrl:1
	v_add_f32_dpp v7, v16, v16 quad_perm:[2,3,0,1] row_mask:0xf bank_mask:0xf bound_ctrl:1
	v_cndmask_b32_e32 v16, v6, v7, vcc
	v_sub_f32_dpp v6, v17, v17 quad_perm:[2,3,0,1] row_mask:0xf bank_mask:0xf bound_ctrl:1
	v_add_f32_dpp v7, v17, v17 quad_perm:[2,3,0,1] row_mask:0xf bank_mask:0xf bound_ctrl:1
	;; [unrolled: 3-line block ×7, first 2 shown]
	v_cndmask_b32_e32 v20, v6, v2, vcc
	v_and_b32_e32 v0, 4, v0
	v_sub_f32_dpp v2, v3, v3 quad_perm:[2,3,0,1] row_mask:0xf bank_mask:0xf bound_ctrl:1
	v_add_f32_dpp v3, v3, v3 quad_perm:[2,3,0,1] row_mask:0xf bank_mask:0xf bound_ctrl:1
	v_cndmask_b32_e32 v21, v2, v3, vcc
	v_mov_b32_dpp v2, v4 row_shl:4 row_mask:0xf bank_mask:0x5 bound_ctrl:1
	v_cmp_eq_u32_e32 vcc, 0, v0
	s_mov_b32 s4, 0x3db504f3
	v_mov_b32_dpp v2, v4 row_shr:4 row_mask:0xf bank_mask:0xa bound_ctrl:1
	v_sub_f32_e32 v3, v2, v4
	v_add_f32_e32 v2, v4, v2
	v_cndmask_b32_e32 v0, v3, v2, vcc
	s_add_u32 s0, s0, s6
	v_mov_b32_dpp v2, v5 row_shl:4 row_mask:0xf bank_mask:0x5 bound_ctrl:1
	s_addc_u32 s1, s1, s7
	v_fma_mixlo_f16 v0, v0, s4, 0
	v_mov_b32_dpp v2, v5 row_shr:4 row_mask:0xf bank_mask:0xa bound_ctrl:1
	v_sub_f32_e32 v3, v2, v5
	v_add_f32_e32 v2, v5, v2
	v_cndmask_b32_e32 v2, v3, v2, vcc
	v_mov_b32_dpp v3, v8 row_shl:4 row_mask:0xf bank_mask:0x5 bound_ctrl:1
	s_lshl_b32 s2, s12, 8
	s_and_b32 s1, s1, 0xffff
	v_mov_b32_dpp v3, v8 row_shr:4 row_mask:0xf bank_mask:0xa bound_ctrl:1
	v_sub_f32_e32 v4, v3, v8
	v_add_f32_e32 v3, v8, v3
	v_cndmask_b32_e32 v3, v4, v3, vcc
	v_mov_b32_dpp v4, v9 row_shl:4 row_mask:0xf bank_mask:0x5 bound_ctrl:1
	v_pk_mul_f32 v[2:3], v[2:3], s[4:5] op_sel_hi:[1,0]
	v_cvt_f16_f32_e32 v3, v3
	v_mov_b32_dpp v4, v9 row_shr:4 row_mask:0xf bank_mask:0xa bound_ctrl:1
	v_sub_f32_e32 v5, v4, v9
	v_add_f32_e32 v4, v9, v4
	v_cndmask_b32_e32 v4, v5, v4, vcc
	v_mov_b32_dpp v5, v14 row_shl:4 row_mask:0xf bank_mask:0x5 bound_ctrl:1
	v_cvt_f16_f32_e32 v2, v2
	s_mov_b32 s3, 0x20000
	v_mov_b32_dpp v5, v14 row_shr:4 row_mask:0xf bank_mask:0xa bound_ctrl:1
	v_sub_f32_e32 v6, v5, v14
	v_add_f32_e32 v5, v14, v5
	v_cndmask_b32_e32 v5, v6, v5, vcc
	v_mov_b32_dpp v6, v15 row_shl:4 row_mask:0xf bank_mask:0x5 bound_ctrl:1
	v_pk_mul_f32 v[4:5], v[4:5], s[4:5] op_sel_hi:[1,0]
	v_pack_b32_f16 v2, v0, v2
	v_mov_b32_dpp v6, v15 row_shr:4 row_mask:0xf bank_mask:0xa bound_ctrl:1
	v_sub_f32_e32 v7, v6, v15
	v_add_f32_e32 v6, v15, v6
	v_cndmask_b32_e32 v6, v7, v6, vcc
	v_mov_b32_dpp v7, v18 row_shl:4 row_mask:0xf bank_mask:0x5 bound_ctrl:1
	s_nop 1
	v_mov_b32_dpp v7, v18 row_shr:4 row_mask:0xf bank_mask:0xa bound_ctrl:1
	v_sub_f32_e32 v8, v7, v18
	v_add_f32_e32 v7, v18, v7
	v_cndmask_b32_e32 v7, v8, v7, vcc
	v_mov_b32_dpp v8, v19 row_shl:4 row_mask:0xf bank_mask:0x5 bound_ctrl:1
	v_pk_mul_f32 v[6:7], v[6:7], s[4:5] op_sel_hi:[1,0]
	v_cvt_f16_f32_e32 v6, v6
	v_mov_b32_dpp v8, v19 row_shr:4 row_mask:0xf bank_mask:0xa bound_ctrl:1
	v_sub_f32_e32 v9, v8, v19
	v_add_f32_e32 v8, v19, v8
	v_cndmask_b32_e32 v14, v9, v8, vcc
	v_cvt_f16_f32_e32 v18, v4
	v_mov_b32_dpp v8, v16 row_shl:4 row_mask:0xf bank_mask:0x5 bound_ctrl:1
	v_pack_b32_f16 v3, v3, v18
	s_nop 0
	v_mov_b32_dpp v8, v16 row_shr:4 row_mask:0xf bank_mask:0xa bound_ctrl:1
	v_sub_f32_e32 v9, v8, v16
	v_add_f32_e32 v8, v16, v8
	v_cndmask_b32_e32 v15, v9, v8, vcc
	v_fma_mixlo_f16 v0, v15, s4, 0
	v_mov_b32_dpp v8, v17 row_shl:4 row_mask:0xf bank_mask:0x5 bound_ctrl:1
	s_nop 1
	v_mov_b32_dpp v8, v17 row_shr:4 row_mask:0xf bank_mask:0xa bound_ctrl:1
	v_sub_f32_e32 v9, v8, v17
	v_add_f32_e32 v8, v17, v8
	v_cndmask_b32_e32 v8, v9, v8, vcc
	v_mov_b32_dpp v9, v10 row_shl:4 row_mask:0xf bank_mask:0x5 bound_ctrl:1
	s_nop 1
	v_mov_b32_dpp v9, v10 row_shr:4 row_mask:0xf bank_mask:0xa bound_ctrl:1
	v_sub_f32_e32 v16, v9, v10
	v_add_f32_e32 v9, v10, v9
	v_mov_b32_dpp v10, v11 row_shl:4 row_mask:0xf bank_mask:0x5 bound_ctrl:1
	v_cndmask_b32_e32 v9, v16, v9, vcc
	s_nop 0
	v_mov_b32_dpp v10, v11 row_shr:4 row_mask:0xf bank_mask:0xa bound_ctrl:1
	v_sub_f32_e32 v16, v10, v11
	v_add_f32_e32 v10, v11, v10
	v_mov_b32_dpp v11, v12 row_shl:4 row_mask:0xf bank_mask:0x5 bound_ctrl:1
	v_cndmask_b32_e32 v10, v16, v10, vcc
	;; [unrolled: 6-line block ×4, first 2 shown]
	s_nop 0
	v_mov_b32_dpp v13, v20 row_shr:4 row_mask:0xf bank_mask:0xa bound_ctrl:1
	v_sub_f32_e32 v16, v13, v20
	v_add_f32_e32 v13, v20, v13
	v_cndmask_b32_e32 v13, v16, v13, vcc
	v_mov_b32_dpp v16, v21 row_shl:4 row_mask:0xf bank_mask:0x5 bound_ctrl:1
	s_nop 1
	v_mov_b32_dpp v16, v21 row_shr:4 row_mask:0xf bank_mask:0xa bound_ctrl:1
	v_sub_f32_e32 v17, v16, v21
	v_add_f32_e32 v16, v21, v16
	v_cndmask_b32_e32 v16, v17, v16, vcc
	v_cvt_f16_f32_e32 v17, v5
	v_cvt_f16_f32_e32 v5, v7
	v_pack_b32_f16 v4, v17, v6
	v_fma_mixhi_f16 v5, v14, s4, 0
	buffer_store_dwordx4 v[2:5], v1, s[0:3], 0 offen
	v_pk_mul_f32 v[6:7], v[12:13], s[4:5] op_sel_hi:[1,0]
	v_pk_mul_f32 v[2:3], v[8:9], s[4:5] op_sel_hi:[1,0]
	;; [unrolled: 1-line block ×3, first 2 shown]
	v_cvt_f16_f32_e32 v3, v3
	v_cvt_f16_f32_e32 v8, v5
	;; [unrolled: 1-line block ×6, first 2 shown]
	v_pack_b32_f16 v4, v8, v6
	v_pack_b32_f16 v3, v3, v9
	;; [unrolled: 1-line block ×3, first 2 shown]
	v_fma_mixhi_f16 v5, v16, s4, 0
	;;#ASMSTART
	s_nop 0
	;;#ASMEND
	buffer_store_dwordx4 v[2:5], v1, s[0:3], 16 offen
	;;#ASMSTART
	s_nop 0
	;;#ASMEND
	s_endpgm
	.section	.rodata,"a",@progbits
	.p2align	6, 0x0
	.amdhsa_kernel _ZN5aiter55rope_hadamard_rotate_activation_fp4quant_inplace_kernelIDF16_Li128ELb0ELi16EEEvPT_PKS1_S4_S4_PKliiiii
		.amdhsa_group_segment_fixed_size 0
		.amdhsa_private_segment_fixed_size 0
		.amdhsa_kernarg_size 60
		.amdhsa_user_sgpr_count 6
		.amdhsa_user_sgpr_private_segment_buffer 1
		.amdhsa_user_sgpr_dispatch_ptr 0
		.amdhsa_user_sgpr_queue_ptr 0
		.amdhsa_user_sgpr_kernarg_segment_ptr 1
		.amdhsa_user_sgpr_dispatch_id 0
		.amdhsa_user_sgpr_flat_scratch_init 0
		.amdhsa_user_sgpr_kernarg_preload_length 0
		.amdhsa_user_sgpr_kernarg_preload_offset 0
		.amdhsa_user_sgpr_private_segment_size 0
		.amdhsa_uses_dynamic_stack 0
		.amdhsa_system_sgpr_private_segment_wavefront_offset 0
		.amdhsa_system_sgpr_workgroup_id_x 1
		.amdhsa_system_sgpr_workgroup_id_y 0
		.amdhsa_system_sgpr_workgroup_id_z 0
		.amdhsa_system_sgpr_workgroup_info 0
		.amdhsa_system_vgpr_workitem_id 0
		.amdhsa_next_free_vgpr 54
		.amdhsa_next_free_sgpr 20
		.amdhsa_accum_offset 56
		.amdhsa_reserve_vcc 1
		.amdhsa_reserve_flat_scratch 0
		.amdhsa_float_round_mode_32 0
		.amdhsa_float_round_mode_16_64 0
		.amdhsa_float_denorm_mode_32 3
		.amdhsa_float_denorm_mode_16_64 3
		.amdhsa_dx10_clamp 1
		.amdhsa_ieee_mode 1
		.amdhsa_fp16_overflow 0
		.amdhsa_tg_split 0
		.amdhsa_exception_fp_ieee_invalid_op 0
		.amdhsa_exception_fp_denorm_src 0
		.amdhsa_exception_fp_ieee_div_zero 0
		.amdhsa_exception_fp_ieee_overflow 0
		.amdhsa_exception_fp_ieee_underflow 0
		.amdhsa_exception_fp_ieee_inexact 0
		.amdhsa_exception_int_div_zero 0
	.end_amdhsa_kernel
	.section	.text._ZN5aiter55rope_hadamard_rotate_activation_fp4quant_inplace_kernelIDF16_Li128ELb0ELi16EEEvPT_PKS1_S4_S4_PKliiiii,"axG",@progbits,_ZN5aiter55rope_hadamard_rotate_activation_fp4quant_inplace_kernelIDF16_Li128ELb0ELi16EEEvPT_PKS1_S4_S4_PKliiiii,comdat
.Lfunc_end25:
	.size	_ZN5aiter55rope_hadamard_rotate_activation_fp4quant_inplace_kernelIDF16_Li128ELb0ELi16EEEvPT_PKS1_S4_S4_PKliiiii, .Lfunc_end25-_ZN5aiter55rope_hadamard_rotate_activation_fp4quant_inplace_kernelIDF16_Li128ELb0ELi16EEEvPT_PKS1_S4_S4_PKliiiii
                                        ; -- End function
	.section	.AMDGPU.csdata,"",@progbits
; Kernel info:
; codeLenInByte = 2752
; NumSgprs: 24
; NumVgprs: 54
; NumAgprs: 0
; TotalNumVgprs: 54
; ScratchSize: 0
; MemoryBound: 0
; FloatMode: 240
; IeeeMode: 1
; LDSByteSize: 0 bytes/workgroup (compile time only)
; SGPRBlocks: 2
; VGPRBlocks: 6
; NumSGPRsForWavesPerEU: 24
; NumVGPRsForWavesPerEU: 54
; AccumOffset: 56
; Occupancy: 8
; WaveLimiterHint : 1
; COMPUTE_PGM_RSRC2:SCRATCH_EN: 0
; COMPUTE_PGM_RSRC2:USER_SGPR: 6
; COMPUTE_PGM_RSRC2:TRAP_HANDLER: 0
; COMPUTE_PGM_RSRC2:TGID_X_EN: 1
; COMPUTE_PGM_RSRC2:TGID_Y_EN: 0
; COMPUTE_PGM_RSRC2:TGID_Z_EN: 0
; COMPUTE_PGM_RSRC2:TIDIG_COMP_CNT: 0
; COMPUTE_PGM_RSRC3_GFX90A:ACCUM_OFFSET: 13
; COMPUTE_PGM_RSRC3_GFX90A:TG_SPLIT: 0
	.section	.text._ZN5aiter55rope_hadamard_rotate_activation_fp4quant_inplace_kernelItLi128ELb0ELi16EEEvPT_PKS1_S4_S4_PKliiiii,"axG",@progbits,_ZN5aiter55rope_hadamard_rotate_activation_fp4quant_inplace_kernelItLi128ELb0ELi16EEEvPT_PKS1_S4_S4_PKliiiii,comdat
	.protected	_ZN5aiter55rope_hadamard_rotate_activation_fp4quant_inplace_kernelItLi128ELb0ELi16EEEvPT_PKS1_S4_S4_PKliiiii ; -- Begin function _ZN5aiter55rope_hadamard_rotate_activation_fp4quant_inplace_kernelItLi128ELb0ELi16EEEvPT_PKS1_S4_S4_PKliiiii
	.globl	_ZN5aiter55rope_hadamard_rotate_activation_fp4quant_inplace_kernelItLi128ELb0ELi16EEEvPT_PKS1_S4_S4_PKliiiii
	.p2align	8
	.type	_ZN5aiter55rope_hadamard_rotate_activation_fp4quant_inplace_kernelItLi128ELb0ELi16EEEvPT_PKS1_S4_S4_PKliiiii,@function
_ZN5aiter55rope_hadamard_rotate_activation_fp4quant_inplace_kernelItLi128ELb0ELi16EEEvPT_PKS1_S4_S4_PKliiiii: ; @_ZN5aiter55rope_hadamard_rotate_activation_fp4quant_inplace_kernelItLi128ELb0ELi16EEEvPT_PKS1_S4_S4_PKliiiii
; %bb.0:
	s_load_dwordx4 s[8:11], s[4:5], 0x28
	s_load_dwordx4 s[0:3], s[4:5], 0x0
	s_lshl_b32 s14, s6, 3
	s_mov_b32 s19, 0x20000
	v_lshlrev_b32_e32 v1, 5, v0
	s_waitcnt lgkmcnt(0)
	s_sub_i32 s6, s8, s14
	s_min_i32 s12, s6, 8
	s_mul_hi_i32 s7, s11, s14
	s_mul_i32 s6, s11, s14
	s_sub_i32 s13, 0x80, s10
	s_lshl_b64 s[6:7], s[6:7], 1
	s_add_u32 s16, s2, s6
	s_addc_u32 s2, s3, s7
	s_mul_i32 s3, s12, s11
	s_lshl_b32 s18, s3, 1
	s_and_b32 s17, s2, 0xffff
	buffer_load_dwordx4 v[6:9], v1, s[16:19], 0 offen
	buffer_load_dwordx4 v[2:5], v1, s[16:19], 16 offen
	v_lshrrev_b32_e32 v12, 3, v0
	v_lshlrev_b32_e32 v11, 4, v0
	v_lshlrev_b32_e32 v15, 7, v12
	v_sub_u32_e32 v11, v11, v15
	v_cmp_le_i32_e32 vcc, s13, v11
	s_waitcnt vmcnt(1)
	v_cvt_f32_u32_sdwa v39, v6 dst_sel:DWORD dst_unused:UNUSED_PAD src0_sel:WORD_1
	v_cvt_f32_u32_sdwa v37, v6 dst_sel:DWORD dst_unused:UNUSED_PAD src0_sel:WORD_0
	v_cvt_f32_u32_sdwa v35, v7 dst_sel:DWORD dst_unused:UNUSED_PAD src0_sel:WORD_1
	v_cvt_f32_u32_sdwa v36, v7 dst_sel:DWORD dst_unused:UNUSED_PAD src0_sel:WORD_0
	;; [unrolled: 2-line block ×4, first 2 shown]
	s_waitcnt vmcnt(0)
	v_cvt_f32_u32_sdwa v23, v3 dst_sel:DWORD dst_unused:UNUSED_PAD src0_sel:WORD_0
	v_cvt_f32_u32_sdwa v18, v2 dst_sel:DWORD dst_unused:UNUSED_PAD src0_sel:WORD_0
	v_cvt_f32_u32_sdwa v25, v3 dst_sel:DWORD dst_unused:UNUSED_PAD src0_sel:WORD_1
	v_cvt_f32_u32_sdwa v20, v2 dst_sel:DWORD dst_unused:UNUSED_PAD src0_sel:WORD_1
	;; [unrolled: 1-line block ×3, first 2 shown]
	v_cvt_f32_u32_sdwa v10, v4 dst_sel:DWORD dst_unused:UNUSED_PAD src0_sel:WORD_0
	v_cvt_f32_u32_sdwa v14, v5 dst_sel:DWORD dst_unused:UNUSED_PAD src0_sel:WORD_1
	v_cvt_f32_u32_sdwa v16, v5 dst_sel:DWORD dst_unused:UNUSED_PAD src0_sel:WORD_0
	s_and_saveexec_b64 s[2:3], vcc
	s_xor_b64 s[2:3], exec, s[2:3]
	s_cbranch_execz .LBB26_2
; %bb.1:
	v_add_u32_e32 v10, s14, v12
	s_add_i32 s11, s8, -1
	s_load_dwordx2 s[16:17], s[4:5], 0x20
	v_mov_b32_e32 v12, s11
	v_cmp_gt_i32_e32 vcc, s8, v10
	v_cndmask_b32_e32 v10, v12, v10, vcc
	s_ff1_i32_b32 s8, s9
	v_ashrrev_i32_e32 v12, s8, v10
	v_ashrrev_i32_e32 v13, 31, v12
	v_lshlrev_b64 v[12:13], 3, v[12:13]
	s_waitcnt lgkmcnt(0)
	v_mov_b32_e32 v10, s17
	v_add_co_u32_e32 v12, vcc, s16, v12
	v_addc_co_u32_e32 v13, vcc, v10, v13, vcc
	global_load_dwordx2 v[12:13], v[12:13], off
	s_load_dwordx4 s[16:19], s[4:5], 0x10
	s_lshr_b32 s4, s10, 31
	s_add_i32 s4, s10, s4
	s_ashr_i32 s4, s4, 1
	s_ashr_i32 s5, s4, 31
	v_subrev_u32_e32 v10, s13, v11
	v_lshrrev_b32_e32 v11, 31, v10
	v_add_u32_e32 v10, v10, v11
	s_waitcnt lgkmcnt(0)
	v_mov_b32_e32 v14, s17
	v_ashrrev_i32_e32 v10, 1, v10
	v_ashrrev_i32_e32 v11, 31, v10
	v_mov_b32_e32 v15, s19
	v_lshlrev_b64 v[10:11], 1, v[10:11]
	v_cvt_f32_u32_sdwa v41, v6 dst_sel:DWORD dst_unused:UNUSED_PAD src0_sel:WORD_1
	v_cvt_f32_u32_sdwa v40, v6 dst_sel:DWORD dst_unused:UNUSED_PAD src0_sel:WORD_0
	v_cvt_f32_u32_sdwa v6, v8 dst_sel:DWORD dst_unused:UNUSED_PAD src0_sel:WORD_0
	v_cvt_f32_u32_sdwa v43, v5 dst_sel:DWORD dst_unused:UNUSED_PAD src0_sel:WORD_1
	v_cvt_f32_u32_sdwa v42, v5 dst_sel:DWORD dst_unused:UNUSED_PAD src0_sel:WORD_0
	v_cvt_f32_u32_sdwa v39, v4 dst_sel:DWORD dst_unused:UNUSED_PAD src0_sel:WORD_1
	v_cvt_f32_u32_sdwa v38, v4 dst_sel:DWORD dst_unused:UNUSED_PAD src0_sel:WORD_0
	v_mov_b32_e32 v4, v43
	s_waitcnt vmcnt(0)
	v_mul_lo_u32 v16, v13, s4
	v_mul_lo_u32 v17, v12, s5
	v_mad_u64_u32 v[12:13], s[4:5], v12, s4, 0
	v_add3_u32 v13, v13, v17, v16
	v_lshlrev_b64 v[12:13], 1, v[12:13]
	v_add_co_u32_e32 v16, vcc, s16, v12
	v_addc_co_u32_e32 v14, vcc, v14, v13, vcc
	v_add_co_u32_e32 v12, vcc, s18, v12
	v_addc_co_u32_e32 v13, vcc, v15, v13, vcc
	;; [unrolled: 2-line block ×4, first 2 shown]
	global_load_dwordx4 v[10:13], v[18:19], off
	global_load_dwordx4 v[14:17], v[20:21], off
	v_cvt_f32_u32_sdwa v19, v7 dst_sel:DWORD dst_unused:UNUSED_PAD src0_sel:WORD_1
	v_cvt_f32_u32_sdwa v18, v7 dst_sel:DWORD dst_unused:UNUSED_PAD src0_sel:WORD_0
	v_cvt_f32_u32_sdwa v7, v8 dst_sel:DWORD dst_unused:UNUSED_PAD src0_sel:WORD_1
	v_cvt_f32_u32_sdwa v21, v9 dst_sel:DWORD dst_unused:UNUSED_PAD src0_sel:WORD_1
	v_cvt_f32_u32_sdwa v20, v9 dst_sel:DWORD dst_unused:UNUSED_PAD src0_sel:WORD_0
	v_cvt_f32_u32_sdwa v9, v3 dst_sel:DWORD dst_unused:UNUSED_PAD src0_sel:WORD_0
	;; [unrolled: 1-line block ×3, first 2 shown]
	v_cvt_f32_u32_sdwa v3, v3 dst_sel:DWORD dst_unused:UNUSED_PAD src0_sel:WORD_1
	v_cvt_f32_u32_sdwa v2, v2 dst_sel:DWORD dst_unused:UNUSED_PAD src0_sel:WORD_1
	s_waitcnt vmcnt(1)
	v_cvt_f32_u32_sdwa v45, v10 dst_sel:DWORD dst_unused:UNUSED_PAD src0_sel:WORD_0
	s_waitcnt vmcnt(0)
	v_cvt_f32_u32_sdwa v44, v14 dst_sel:DWORD dst_unused:UNUSED_PAD src0_sel:WORD_0
	v_cvt_f32_u32_sdwa v14, v14 dst_sel:DWORD dst_unused:UNUSED_PAD src0_sel:WORD_1
	v_cvt_f32_u32_sdwa v24, v15 dst_sel:DWORD dst_unused:UNUSED_PAD src0_sel:WORD_0
	v_cvt_f32_u32_sdwa v26, v15 dst_sel:DWORD dst_unused:UNUSED_PAD src0_sel:WORD_1
	v_cvt_f32_u32_sdwa v47, v16 dst_sel:DWORD dst_unused:UNUSED_PAD src0_sel:WORD_1
	v_cvt_f32_u32_sdwa v46, v12 dst_sel:DWORD dst_unused:UNUSED_PAD src0_sel:WORD_0
	v_cvt_f32_u32_sdwa v49, v12 dst_sel:DWORD dst_unused:UNUSED_PAD src0_sel:WORD_1
	v_cvt_f32_u32_sdwa v48, v16 dst_sel:DWORD dst_unused:UNUSED_PAD src0_sel:WORD_0
	v_cvt_f32_u32_sdwa v51, v13 dst_sel:DWORD dst_unused:UNUSED_PAD src0_sel:WORD_1
	v_cvt_f32_u32_sdwa v50, v17 dst_sel:DWORD dst_unused:UNUSED_PAD src0_sel:WORD_1
	;; [unrolled: 1-line block ×3, first 2 shown]
	v_cvt_f32_u32_sdwa v22, v11 dst_sel:DWORD dst_unused:UNUSED_PAD src0_sel:WORD_0
	v_cvt_f32_u32_sdwa v30, v11 dst_sel:DWORD dst_unused:UNUSED_PAD src0_sel:WORD_1
	v_cvt_f32_u32_sdwa v16, v17 dst_sel:DWORD dst_unused:UNUSED_PAD src0_sel:WORD_0
	v_cvt_f32_u32_sdwa v12, v13 dst_sel:DWORD dst_unused:UNUSED_PAD src0_sel:WORD_0
	v_pk_mul_f32 v[28:29], v[44:45], v[40:41]
	v_pk_mul_f32 v[14:15], v[14:15], v[18:19] op_sel_hi:[0,1]
	v_pk_mul_f32 v[24:25], v[24:25], v[6:7] op_sel_hi:[0,1]
	v_pk_mul_f32 v[52:53], v[26:27], v[20:21] op_sel_hi:[0,1]
	v_pk_mul_f32 v[54:55], v[48:49], v[2:3]
	v_pk_mul_f32 v[2:3], v[46:47], v[2:3]
	;; [unrolled: 1-line block ×3, first 2 shown]
	v_pk_mul_f32 v[16:17], v[16:17], v[38:39] op_sel_hi:[0,1]
	v_mov_b32_e32 v56, v51
	v_pk_mul_f32 v[4:5], v[4:5], v[50:51] op_sel_hi:[0,1]
	v_mul_f32_e32 v58, v45, v40
	v_mov_b32_e32 v57, v28
	v_pk_fma_f32 v[36:37], v[10:11], v[18:19], v[14:15] op_sel:[0,0,1] op_sel_hi:[0,1,0] neg_lo:[0,0,1] neg_hi:[0,0,1]
	v_pk_fma_f32 v[26:27], v[22:23], v[6:7], v[24:25] op_sel:[0,0,1] op_sel_hi:[0,1,0] neg_lo:[0,0,1] neg_hi:[0,0,1]
	v_pk_fma_f32 v[28:29], v[22:23], v[6:7], v[24:25] op_sel:[0,0,1] op_sel_hi:[0,1,0]
	v_pk_fma_f32 v[32:33], v[30:31], v[20:21], v[52:53] op_sel:[0,0,1] op_sel_hi:[0,1,0] neg_lo:[0,0,1] neg_hi:[0,0,1]
	v_pk_fma_f32 v[30:31], v[30:31], v[20:21], v[52:53] op_sel:[0,0,1] op_sel_hi:[0,1,0]
	v_pk_fma_f32 v[20:21], v[48:49], v[8:9], v[2:3]
	v_pk_fma_f32 v[22:23], v[48:49], v[8:9], v[2:3] neg_lo:[0,0,1] neg_hi:[0,0,1]
	v_mov_b32_e32 v2, v59
	v_pk_fma_f32 v[34:35], v[10:11], v[18:19], v[14:15] op_sel:[0,0,1] op_sel_hi:[0,1,0]
	v_pk_fma_f32 v[18:19], v[46:47], v[8:9], v[54:55] neg_lo:[0,0,1] neg_hi:[0,0,1]
	v_pk_fma_f32 v[24:25], v[46:47], v[8:9], v[54:55]
	v_pk_fma_f32 v[10:11], v[12:13], v[38:39], v[16:17] op_sel:[0,0,1] op_sel_hi:[0,1,0] neg_lo:[0,0,1] neg_hi:[0,0,1]
	v_pk_fma_f32 v[12:13], v[12:13], v[38:39], v[16:17] op_sel:[0,0,1] op_sel_hi:[0,1,0]
	v_pk_fma_f32 v[16:17], v[56:57], v[42:43], v[4:5] op_sel_hi:[0,1,1] neg_lo:[0,0,1] neg_hi:[0,0,1]
	v_pk_fma_f32 v[38:39], v[44:45], v[40:41], v[56:57]
	v_pk_fma_f32 v[14:15], v[50:51], v[42:43], v[2:3]
	v_fma_f32 v37, -v41, v44, v58
.LBB26_2:
	s_andn2_saveexec_b64 s[2:3], s[2:3]
	s_or_b64 exec, exec, s[2:3]
	v_mov_b32_e32 v38, v35
	v_mov_b32_e32 v6, v39
	;; [unrolled: 1-line block ×6, first 2 shown]
	v_pk_add_f32 v[2:3], v[36:37], v[38:39]
	v_pk_add_f32 v[4:5], v[36:37], v[38:39] neg_lo:[0,1] neg_hi:[0,1]
	v_pk_add_f32 v[8:9], v[6:7], v[34:35]
	v_pk_add_f32 v[6:7], v[6:7], v[34:35] neg_lo:[0,1] neg_hi:[0,1]
	v_pk_add_f32 v[34:35], v[32:33], v[28:29]
	v_pk_add_f32 v[36:37], v[32:33], v[28:29] neg_lo:[0,1] neg_hi:[0,1]
	v_mov_b32_e32 v28, v29
	v_mov_b32_e32 v29, v32
	;; [unrolled: 1-line block ×3, first 2 shown]
	v_pk_add_f32 v[30:31], v[28:29], v[26:27]
	v_pk_add_f32 v[26:27], v[28:29], v[26:27] neg_lo:[0,1] neg_hi:[0,1]
	v_mov_b32_e32 v28, v23
	v_mov_b32_e32 v29, v18
	;; [unrolled: 1-line block ×11, first 2 shown]
	v_pk_add_f32 v[38:39], v[28:29], v[32:33]
	v_pk_add_f32 v[28:29], v[28:29], v[32:33] neg_lo:[0,1] neg_hi:[0,1]
	v_pk_add_f32 v[22:23], v[20:21], v[18:19]
	v_pk_add_f32 v[18:19], v[20:21], v[18:19] neg_lo:[0,1] neg_hi:[0,1]
	;; [unrolled: 2-line block ×4, first 2 shown]
	v_mov_b32_e32 v3, v5
	v_mov_b32_e32 v9, v7
	;; [unrolled: 1-line block ×8, first 2 shown]
	v_pk_add_f32 v[12:13], v[8:9], v[2:3]
	v_pk_add_f32 v[16:17], v[30:31], v[34:35]
	;; [unrolled: 1-line block ×4, first 2 shown]
	v_mov_b32_e32 v9, v5
	v_mov_b32_e32 v3, v7
	;; [unrolled: 1-line block ×8, first 2 shown]
	v_pk_add_f32 v[2:3], v[8:9], v[2:3] neg_lo:[0,1] neg_hi:[0,1]
	v_pk_add_f32 v[4:5], v[30:31], v[34:35] neg_lo:[0,1] neg_hi:[0,1]
	;; [unrolled: 1-line block ×4, first 2 shown]
	v_pk_add_f32 v[42:43], v[12:13], v[16:17]
	v_pk_add_f32 v[44:45], v[32:33], v[40:41]
	;; [unrolled: 1-line block ×3, first 2 shown]
	v_pk_add_f32 v[2:3], v[2:3], v[4:5] neg_lo:[0,1] neg_hi:[0,1]
	v_pk_add_f32 v[4:5], v[6:7], v[8:9] neg_lo:[0,1] neg_hi:[0,1]
	v_pk_add_f32 v[46:47], v[42:43], v[44:45]
	v_pk_add_f32 v[14:15], v[6:7], v[8:9]
	;; [unrolled: 1-line block ×3, first 2 shown]
	v_pk_add_f32 v[2:3], v[2:3], v[4:5] neg_lo:[0,1] neg_hi:[0,1]
	v_and_b32_e32 v4, 1, v0
	v_sub_f32_dpp v5, v46, v46 quad_perm:[1,0,3,2] row_mask:0xf bank_mask:0xf bound_ctrl:1
	v_add_f32_dpp v8, v46, v46 quad_perm:[1,0,3,2] row_mask:0xf bank_mask:0xf bound_ctrl:1
	v_cmp_eq_u32_e32 vcc, 0, v4
	v_pk_add_f32 v[18:19], v[10:11], v[14:15]
	v_cndmask_b32_e32 v4, v5, v8, vcc
	v_sub_f32_dpp v5, v47, v47 quad_perm:[1,0,3,2] row_mask:0xf bank_mask:0xf bound_ctrl:1
	v_add_f32_dpp v8, v47, v47 quad_perm:[1,0,3,2] row_mask:0xf bank_mask:0xf bound_ctrl:1
	v_pk_add_f32 v[10:11], v[10:11], v[14:15] neg_lo:[0,1] neg_hi:[0,1]
	v_pk_add_f32 v[12:13], v[12:13], v[16:17] neg_lo:[0,1] neg_hi:[0,1]
	;; [unrolled: 1-line block ×3, first 2 shown]
	v_cndmask_b32_e32 v5, v5, v8, vcc
	v_sub_f32_dpp v8, v18, v18 quad_perm:[1,0,3,2] row_mask:0xf bank_mask:0xf bound_ctrl:1
	v_add_f32_dpp v9, v18, v18 quad_perm:[1,0,3,2] row_mask:0xf bank_mask:0xf bound_ctrl:1
	v_pk_add_f32 v[16:17], v[12:13], v[14:15]
	v_pk_add_f32 v[12:13], v[12:13], v[14:15] neg_lo:[0,1] neg_hi:[0,1]
	v_cndmask_b32_e32 v8, v8, v9, vcc
	v_sub_f32_dpp v9, v19, v19 quad_perm:[1,0,3,2] row_mask:0xf bank_mask:0xf bound_ctrl:1
	v_add_f32_dpp v14, v19, v19 quad_perm:[1,0,3,2] row_mask:0xf bank_mask:0xf bound_ctrl:1
	v_cndmask_b32_e32 v9, v9, v14, vcc
	v_add_f32_dpp v15, v16, v16 quad_perm:[1,0,3,2] row_mask:0xf bank_mask:0xf bound_ctrl:1
	v_sub_f32_dpp v14, v16, v16 quad_perm:[1,0,3,2] row_mask:0xf bank_mask:0xf bound_ctrl:1
	v_cndmask_b32_e32 v14, v14, v15, vcc
	v_sub_f32_dpp v15, v17, v17 quad_perm:[1,0,3,2] row_mask:0xf bank_mask:0xf bound_ctrl:1
	v_add_f32_dpp v16, v17, v17 quad_perm:[1,0,3,2] row_mask:0xf bank_mask:0xf bound_ctrl:1
	v_cndmask_b32_e32 v15, v15, v16, vcc
	v_pk_add_f32 v[42:43], v[42:43], v[44:45] neg_lo:[0,1] neg_hi:[0,1]
	v_sub_f32_dpp v16, v6, v6 quad_perm:[1,0,3,2] row_mask:0xf bank_mask:0xf bound_ctrl:1
	v_add_f32_dpp v6, v6, v6 quad_perm:[1,0,3,2] row_mask:0xf bank_mask:0xf bound_ctrl:1
	v_cndmask_b32_e32 v6, v16, v6, vcc
	v_sub_f32_dpp v16, v7, v7 quad_perm:[1,0,3,2] row_mask:0xf bank_mask:0xf bound_ctrl:1
	v_add_f32_dpp v7, v7, v7 quad_perm:[1,0,3,2] row_mask:0xf bank_mask:0xf bound_ctrl:1
	v_cndmask_b32_e32 v7, v16, v7, vcc
	;; [unrolled: 3-line block ×3, first 2 shown]
	v_add_f32_dpp v18, v43, v43 quad_perm:[1,0,3,2] row_mask:0xf bank_mask:0xf bound_ctrl:1
	v_sub_f32_dpp v17, v43, v43 quad_perm:[1,0,3,2] row_mask:0xf bank_mask:0xf bound_ctrl:1
	v_cndmask_b32_e32 v17, v17, v18, vcc
	v_sub_f32_dpp v18, v10, v10 quad_perm:[1,0,3,2] row_mask:0xf bank_mask:0xf bound_ctrl:1
	v_add_f32_dpp v10, v10, v10 quad_perm:[1,0,3,2] row_mask:0xf bank_mask:0xf bound_ctrl:1
	v_cndmask_b32_e32 v10, v18, v10, vcc
	v_sub_f32_dpp v18, v11, v11 quad_perm:[1,0,3,2] row_mask:0xf bank_mask:0xf bound_ctrl:1
	v_add_f32_dpp v11, v11, v11 quad_perm:[1,0,3,2] row_mask:0xf bank_mask:0xf bound_ctrl:1
	;; [unrolled: 3-line block ×6, first 2 shown]
	v_cndmask_b32_e32 v3, v18, v3, vcc
	v_and_b32_e32 v18, 2, v0
	v_cmp_eq_u32_e32 vcc, 0, v18
	v_sub_f32_dpp v19, v4, v4 quad_perm:[2,3,0,1] row_mask:0xf bank_mask:0xf bound_ctrl:1
	v_sub_f32_dpp v18, v5, v5 quad_perm:[2,3,0,1] row_mask:0xf bank_mask:0xf bound_ctrl:1
	v_add_f32_dpp v5, v5, v5 quad_perm:[2,3,0,1] row_mask:0xf bank_mask:0xf bound_ctrl:1
	v_cndmask_b32_e32 v5, v18, v5, vcc
	v_sub_f32_dpp v18, v8, v8 quad_perm:[2,3,0,1] row_mask:0xf bank_mask:0xf bound_ctrl:1
	v_add_f32_dpp v8, v8, v8 quad_perm:[2,3,0,1] row_mask:0xf bank_mask:0xf bound_ctrl:1
	v_cndmask_b32_e32 v8, v18, v8, vcc
	v_sub_f32_dpp v18, v9, v9 quad_perm:[2,3,0,1] row_mask:0xf bank_mask:0xf bound_ctrl:1
	v_add_f32_dpp v9, v9, v9 quad_perm:[2,3,0,1] row_mask:0xf bank_mask:0xf bound_ctrl:1
	v_cndmask_b32_e32 v9, v18, v9, vcc
	v_sub_f32_dpp v18, v14, v14 quad_perm:[2,3,0,1] row_mask:0xf bank_mask:0xf bound_ctrl:1
	v_add_f32_dpp v14, v14, v14 quad_perm:[2,3,0,1] row_mask:0xf bank_mask:0xf bound_ctrl:1
	v_cndmask_b32_e32 v14, v18, v14, vcc
	v_sub_f32_dpp v18, v15, v15 quad_perm:[2,3,0,1] row_mask:0xf bank_mask:0xf bound_ctrl:1
	v_add_f32_dpp v15, v15, v15 quad_perm:[2,3,0,1] row_mask:0xf bank_mask:0xf bound_ctrl:1
	v_cndmask_b32_e32 v15, v18, v15, vcc
	v_sub_f32_dpp v18, v6, v6 quad_perm:[2,3,0,1] row_mask:0xf bank_mask:0xf bound_ctrl:1
	v_add_f32_dpp v6, v6, v6 quad_perm:[2,3,0,1] row_mask:0xf bank_mask:0xf bound_ctrl:1
	v_add_f32_dpp v4, v4, v4 quad_perm:[2,3,0,1] row_mask:0xf bank_mask:0xf bound_ctrl:1
	v_cndmask_b32_e32 v18, v18, v6, vcc
	v_sub_f32_dpp v6, v7, v7 quad_perm:[2,3,0,1] row_mask:0xf bank_mask:0xf bound_ctrl:1
	v_add_f32_dpp v7, v7, v7 quad_perm:[2,3,0,1] row_mask:0xf bank_mask:0xf bound_ctrl:1
	v_cndmask_b32_e32 v4, v19, v4, vcc
	v_cndmask_b32_e32 v19, v6, v7, vcc
	v_sub_f32_dpp v6, v16, v16 quad_perm:[2,3,0,1] row_mask:0xf bank_mask:0xf bound_ctrl:1
	v_add_f32_dpp v7, v16, v16 quad_perm:[2,3,0,1] row_mask:0xf bank_mask:0xf bound_ctrl:1
	v_cndmask_b32_e32 v16, v6, v7, vcc
	v_sub_f32_dpp v6, v17, v17 quad_perm:[2,3,0,1] row_mask:0xf bank_mask:0xf bound_ctrl:1
	v_add_f32_dpp v7, v17, v17 quad_perm:[2,3,0,1] row_mask:0xf bank_mask:0xf bound_ctrl:1
	;; [unrolled: 3-line block ×7, first 2 shown]
	v_cndmask_b32_e32 v24, v6, v2, vcc
	v_and_b32_e32 v0, 4, v0
	v_sub_f32_dpp v2, v3, v3 quad_perm:[2,3,0,1] row_mask:0xf bank_mask:0xf bound_ctrl:1
	v_add_f32_dpp v3, v3, v3 quad_perm:[2,3,0,1] row_mask:0xf bank_mask:0xf bound_ctrl:1
	v_cndmask_b32_e32 v25, v2, v3, vcc
	v_mov_b32_dpp v2, v4 row_shl:4 row_mask:0xf bank_mask:0x5 bound_ctrl:1
	v_cmp_eq_u32_e32 vcc, 0, v0
	v_mov_b32_dpp v0, v5 row_shl:4 row_mask:0xf bank_mask:0x5 bound_ctrl:1
	v_mov_b32_dpp v2, v4 row_shr:4 row_mask:0xf bank_mask:0xa bound_ctrl:1
	v_sub_f32_e32 v3, v2, v4
	v_add_f32_e32 v2, v4, v2
	v_mov_b32_dpp v0, v5 row_shr:4 row_mask:0xf bank_mask:0xa bound_ctrl:1
	v_cndmask_b32_e32 v2, v3, v2, vcc
	v_sub_f32_e32 v3, v0, v5
	v_add_f32_e32 v0, v5, v0
	v_cndmask_b32_e32 v3, v3, v0, vcc
	s_add_u32 s0, s0, s6
	v_mov_b32_dpp v0, v8 row_shl:4 row_mask:0xf bank_mask:0x5 bound_ctrl:1
	s_mov_b32 s4, 0x3db504f3
	s_addc_u32 s1, s1, s7
	v_mov_b32_dpp v0, v8 row_shr:4 row_mask:0xf bank_mask:0xa bound_ctrl:1
	v_sub_f32_e32 v4, v0, v8
	v_add_f32_e32 v0, v8, v0
	v_cndmask_b32_e32 v4, v4, v0, vcc
	s_lshl_b32 s2, s12, 8
	v_mov_b32_dpp v0, v9 row_shl:4 row_mask:0xf bank_mask:0x5 bound_ctrl:1
	s_and_b32 s1, s1, 0xffff
	s_mov_b32 s3, 0x20000
	v_mov_b32_dpp v0, v9 row_shr:4 row_mask:0xf bank_mask:0xa bound_ctrl:1
	v_sub_f32_e32 v5, v0, v9
	v_add_f32_e32 v0, v9, v0
	v_cndmask_b32_e32 v5, v5, v0, vcc
	s_nop 0
	v_mov_b32_dpp v0, v14 row_shl:4 row_mask:0xf bank_mask:0x5 bound_ctrl:1
	s_nop 1
	v_mov_b32_dpp v0, v14 row_shr:4 row_mask:0xf bank_mask:0xa bound_ctrl:1
	v_sub_f32_e32 v6, v0, v14
	v_add_f32_e32 v0, v14, v0
	v_cndmask_b32_e32 v6, v6, v0, vcc
	s_nop 0
	v_mov_b32_dpp v0, v15 row_shl:4 row_mask:0xf bank_mask:0x5 bound_ctrl:1
	s_nop 1
	v_mov_b32_dpp v0, v15 row_shr:4 row_mask:0xf bank_mask:0xa bound_ctrl:1
	v_sub_f32_e32 v7, v0, v15
	v_add_f32_e32 v0, v15, v0
	v_cndmask_b32_e32 v7, v7, v0, vcc
	v_pk_mul_f32 v[6:7], v[6:7], s[4:5] op_sel_hi:[1,0]
	v_mov_b32_dpp v0, v18 row_shl:4 row_mask:0xf bank_mask:0x5 bound_ctrl:1
	s_nop 1
	v_mov_b32_dpp v0, v18 row_shr:4 row_mask:0xf bank_mask:0xa bound_ctrl:1
	v_sub_f32_e32 v8, v0, v18
	v_add_f32_e32 v0, v18, v0
	v_cndmask_b32_e32 v8, v8, v0, vcc
	s_nop 0
	v_mov_b32_dpp v0, v19 row_shl:4 row_mask:0xf bank_mask:0x5 bound_ctrl:1
	s_nop 1
	v_mov_b32_dpp v0, v19 row_shr:4 row_mask:0xf bank_mask:0xa bound_ctrl:1
	v_sub_f32_e32 v9, v0, v19
	v_add_f32_e32 v0, v19, v0
	v_cndmask_b32_e32 v9, v9, v0, vcc
	v_pk_mul_f32 v[18:19], v[2:3], s[4:5] op_sel_hi:[1,0]
	v_mov_b32_dpp v0, v16 row_shl:4 row_mask:0xf bank_mask:0x5 bound_ctrl:1
	v_pk_mul_f32 v[2:3], v[4:5], s[4:5] op_sel_hi:[1,0]
	v_pk_mul_f32 v[4:5], v[8:9], s[4:5] op_sel_hi:[1,0]
	v_mov_b32_dpp v0, v16 row_shr:4 row_mask:0xf bank_mask:0xa bound_ctrl:1
	v_sub_f32_e32 v10, v0, v16
	v_add_f32_e32 v0, v16, v0
	v_cndmask_b32_e32 v10, v10, v0, vcc
	s_mov_b32 s5, 0x7060302
	v_mov_b32_dpp v0, v17 row_shl:4 row_mask:0xf bank_mask:0x5 bound_ctrl:1
	v_perm_b32 v5, v5, v4, s5
	v_perm_b32 v4, v7, v6, s5
	v_mov_b32_dpp v0, v17 row_shr:4 row_mask:0xf bank_mask:0xa bound_ctrl:1
	v_sub_f32_e32 v11, v0, v17
	v_add_f32_e32 v0, v17, v0
	v_cndmask_b32_e32 v11, v11, v0, vcc
	v_perm_b32 v3, v3, v2, s5
	v_mov_b32_dpp v0, v20 row_shl:4 row_mask:0xf bank_mask:0x5 bound_ctrl:1
	v_perm_b32 v2, v19, v18, s5
	buffer_store_dwordx4 v[2:5], v1, s[0:3], 0 offen
	v_mov_b32_dpp v0, v20 row_shr:4 row_mask:0xf bank_mask:0xa bound_ctrl:1
	v_sub_f32_e32 v12, v0, v20
	v_add_f32_e32 v0, v20, v0
	v_cndmask_b32_e32 v12, v12, v0, vcc
	v_pk_mul_f32 v[6:7], v[10:11], s[4:5] op_sel_hi:[1,0]
	v_mov_b32_dpp v0, v21 row_shl:4 row_mask:0xf bank_mask:0x5 bound_ctrl:1
	;;#ASMSTART
	s_nop 0
	;;#ASMEND
	s_nop 1
	v_mov_b32_dpp v0, v21 row_shr:4 row_mask:0xf bank_mask:0xa bound_ctrl:1
	v_sub_f32_e32 v13, v0, v21
	v_add_f32_e32 v0, v21, v0
	v_cndmask_b32_e32 v13, v13, v0, vcc
	v_pk_mul_f32 v[2:3], v[12:13], s[4:5] op_sel_hi:[1,0]
	v_mov_b32_dpp v0, v22 row_shl:4 row_mask:0xf bank_mask:0x5 bound_ctrl:1
	v_perm_b32 v3, v3, v2, s5
	v_perm_b32 v2, v7, v6, s5
	v_mov_b32_dpp v0, v22 row_shr:4 row_mask:0xf bank_mask:0xa bound_ctrl:1
	v_sub_f32_e32 v14, v0, v22
	v_add_f32_e32 v0, v22, v0
	v_cndmask_b32_e32 v14, v14, v0, vcc
	s_nop 0
	v_mov_b32_dpp v0, v23 row_shl:4 row_mask:0xf bank_mask:0x5 bound_ctrl:1
	s_nop 1
	v_mov_b32_dpp v0, v23 row_shr:4 row_mask:0xf bank_mask:0xa bound_ctrl:1
	v_sub_f32_e32 v15, v0, v23
	v_add_f32_e32 v0, v23, v0
	v_cndmask_b32_e32 v15, v15, v0, vcc
	v_pk_mul_f32 v[8:9], v[14:15], s[4:5] op_sel_hi:[1,0]
	v_mov_b32_dpp v0, v24 row_shl:4 row_mask:0xf bank_mask:0x5 bound_ctrl:1
	s_nop 1
	v_mov_b32_dpp v0, v24 row_shr:4 row_mask:0xf bank_mask:0xa bound_ctrl:1
	v_sub_f32_e32 v16, v0, v24
	v_add_f32_e32 v0, v24, v0
	v_cndmask_b32_e32 v16, v16, v0, vcc
	s_nop 0
	v_mov_b32_dpp v0, v25 row_shl:4 row_mask:0xf bank_mask:0x5 bound_ctrl:1
	s_nop 1
	v_mov_b32_dpp v0, v25 row_shr:4 row_mask:0xf bank_mask:0xa bound_ctrl:1
	v_sub_f32_e32 v17, v0, v25
	v_add_f32_e32 v0, v25, v0
	v_cndmask_b32_e32 v17, v17, v0, vcc
	v_pk_mul_f32 v[4:5], v[16:17], s[4:5] op_sel_hi:[1,0]
	v_perm_b32 v5, v5, v4, s5
	v_perm_b32 v4, v9, v8, s5
	buffer_store_dwordx4 v[2:5], v1, s[0:3], 16 offen
	;;#ASMSTART
	s_nop 0
	;;#ASMEND
	s_endpgm
	.section	.rodata,"a",@progbits
	.p2align	6, 0x0
	.amdhsa_kernel _ZN5aiter55rope_hadamard_rotate_activation_fp4quant_inplace_kernelItLi128ELb0ELi16EEEvPT_PKS1_S4_S4_PKliiiii
		.amdhsa_group_segment_fixed_size 0
		.amdhsa_private_segment_fixed_size 0
		.amdhsa_kernarg_size 60
		.amdhsa_user_sgpr_count 6
		.amdhsa_user_sgpr_private_segment_buffer 1
		.amdhsa_user_sgpr_dispatch_ptr 0
		.amdhsa_user_sgpr_queue_ptr 0
		.amdhsa_user_sgpr_kernarg_segment_ptr 1
		.amdhsa_user_sgpr_dispatch_id 0
		.amdhsa_user_sgpr_flat_scratch_init 0
		.amdhsa_user_sgpr_kernarg_preload_length 0
		.amdhsa_user_sgpr_kernarg_preload_offset 0
		.amdhsa_user_sgpr_private_segment_size 0
		.amdhsa_uses_dynamic_stack 0
		.amdhsa_system_sgpr_private_segment_wavefront_offset 0
		.amdhsa_system_sgpr_workgroup_id_x 1
		.amdhsa_system_sgpr_workgroup_id_y 0
		.amdhsa_system_sgpr_workgroup_id_z 0
		.amdhsa_system_sgpr_workgroup_info 0
		.amdhsa_system_vgpr_workitem_id 0
		.amdhsa_next_free_vgpr 60
		.amdhsa_next_free_sgpr 20
		.amdhsa_accum_offset 60
		.amdhsa_reserve_vcc 1
		.amdhsa_reserve_flat_scratch 0
		.amdhsa_float_round_mode_32 0
		.amdhsa_float_round_mode_16_64 0
		.amdhsa_float_denorm_mode_32 3
		.amdhsa_float_denorm_mode_16_64 3
		.amdhsa_dx10_clamp 1
		.amdhsa_ieee_mode 1
		.amdhsa_fp16_overflow 0
		.amdhsa_tg_split 0
		.amdhsa_exception_fp_ieee_invalid_op 0
		.amdhsa_exception_fp_denorm_src 0
		.amdhsa_exception_fp_ieee_div_zero 0
		.amdhsa_exception_fp_ieee_overflow 0
		.amdhsa_exception_fp_ieee_underflow 0
		.amdhsa_exception_fp_ieee_inexact 0
		.amdhsa_exception_int_div_zero 0
	.end_amdhsa_kernel
	.section	.text._ZN5aiter55rope_hadamard_rotate_activation_fp4quant_inplace_kernelItLi128ELb0ELi16EEEvPT_PKS1_S4_S4_PKliiiii,"axG",@progbits,_ZN5aiter55rope_hadamard_rotate_activation_fp4quant_inplace_kernelItLi128ELb0ELi16EEEvPT_PKS1_S4_S4_PKliiiii,comdat
.Lfunc_end26:
	.size	_ZN5aiter55rope_hadamard_rotate_activation_fp4quant_inplace_kernelItLi128ELb0ELi16EEEvPT_PKS1_S4_S4_PKliiiii, .Lfunc_end26-_ZN5aiter55rope_hadamard_rotate_activation_fp4quant_inplace_kernelItLi128ELb0ELi16EEEvPT_PKS1_S4_S4_PKliiiii
                                        ; -- End function
	.section	.AMDGPU.csdata,"",@progbits
; Kernel info:
; codeLenInByte = 2828
; NumSgprs: 24
; NumVgprs: 60
; NumAgprs: 0
; TotalNumVgprs: 60
; ScratchSize: 0
; MemoryBound: 0
; FloatMode: 240
; IeeeMode: 1
; LDSByteSize: 0 bytes/workgroup (compile time only)
; SGPRBlocks: 2
; VGPRBlocks: 7
; NumSGPRsForWavesPerEU: 24
; NumVGPRsForWavesPerEU: 60
; AccumOffset: 60
; Occupancy: 8
; WaveLimiterHint : 1
; COMPUTE_PGM_RSRC2:SCRATCH_EN: 0
; COMPUTE_PGM_RSRC2:USER_SGPR: 6
; COMPUTE_PGM_RSRC2:TRAP_HANDLER: 0
; COMPUTE_PGM_RSRC2:TGID_X_EN: 1
; COMPUTE_PGM_RSRC2:TGID_Y_EN: 0
; COMPUTE_PGM_RSRC2:TGID_Z_EN: 0
; COMPUTE_PGM_RSRC2:TIDIG_COMP_CNT: 0
; COMPUTE_PGM_RSRC3_GFX90A:ACCUM_OFFSET: 14
; COMPUTE_PGM_RSRC3_GFX90A:TG_SPLIT: 0
	.section	.text._ZN5aiter55rope_hadamard_rotate_activation_fp4quant_inplace_kernelIDF16_Li256ELb0ELi16EEEvPT_PKS1_S4_S4_PKliiiii,"axG",@progbits,_ZN5aiter55rope_hadamard_rotate_activation_fp4quant_inplace_kernelIDF16_Li256ELb0ELi16EEEvPT_PKS1_S4_S4_PKliiiii,comdat
	.protected	_ZN5aiter55rope_hadamard_rotate_activation_fp4quant_inplace_kernelIDF16_Li256ELb0ELi16EEEvPT_PKS1_S4_S4_PKliiiii ; -- Begin function _ZN5aiter55rope_hadamard_rotate_activation_fp4quant_inplace_kernelIDF16_Li256ELb0ELi16EEEvPT_PKS1_S4_S4_PKliiiii
	.globl	_ZN5aiter55rope_hadamard_rotate_activation_fp4quant_inplace_kernelIDF16_Li256ELb0ELi16EEEvPT_PKS1_S4_S4_PKliiiii
	.p2align	8
	.type	_ZN5aiter55rope_hadamard_rotate_activation_fp4quant_inplace_kernelIDF16_Li256ELb0ELi16EEEvPT_PKS1_S4_S4_PKliiiii,@function
_ZN5aiter55rope_hadamard_rotate_activation_fp4quant_inplace_kernelIDF16_Li256ELb0ELi16EEEvPT_PKS1_S4_S4_PKliiiii: ; @_ZN5aiter55rope_hadamard_rotate_activation_fp4quant_inplace_kernelIDF16_Li256ELb0ELi16EEEvPT_PKS1_S4_S4_PKliiiii
; %bb.0:
	s_load_dwordx4 s[8:11], s[4:5], 0x28
	s_load_dwordx4 s[0:3], s[4:5], 0x0
	s_lshl_b32 s14, s6, 2
	s_mov_b32 s19, 0x20000
	v_lshlrev_b32_e32 v1, 5, v0
	s_waitcnt lgkmcnt(0)
	s_sub_i32 s6, s8, s14
	s_min_i32 s12, s6, 4
	s_mul_hi_i32 s7, s11, s14
	s_mul_i32 s6, s11, s14
	s_sub_i32 s13, 0x100, s10
	s_lshl_b64 s[6:7], s[6:7], 1
	s_add_u32 s16, s2, s6
	s_addc_u32 s2, s3, s7
	s_mul_i32 s3, s12, s11
	s_lshl_b32 s18, s3, 1
	s_and_b32 s17, s2, 0xffff
	buffer_load_dwordx4 v[6:9], v1, s[16:19], 0 offen
	buffer_load_dwordx4 v[2:5], v1, s[16:19], 16 offen
	v_lshrrev_b32_e32 v13, 4, v0
	v_lshlrev_b32_e32 v11, 4, v0
	v_lshlrev_b32_e32 v15, 8, v13
	v_sub_u32_e32 v11, v11, v15
	v_cmp_le_i32_e32 vcc, s13, v11
	s_waitcnt vmcnt(1)
	v_cvt_f32_f16_sdwa v29, v6 dst_sel:DWORD dst_unused:UNUSED_PAD src0_sel:WORD_1
	v_cvt_f32_f16_sdwa v28, v7 dst_sel:DWORD dst_unused:UNUSED_PAD src0_sel:WORD_1
	v_cvt_f32_f16_e32 v30, v7
	v_cvt_f32_f16_sdwa v25, v8 dst_sel:DWORD dst_unused:UNUSED_PAD src0_sel:WORD_1
	v_cvt_f32_f16_e32 v27, v8
	;; [unrolled: 2-line block ×3, first 2 shown]
	s_waitcnt vmcnt(0)
	v_cvt_f32_f16_sdwa v20, v2 dst_sel:DWORD dst_unused:UNUSED_PAD src0_sel:WORD_1
	v_cvt_f32_f16_sdwa v22, v3 dst_sel:DWORD dst_unused:UNUSED_PAD src0_sel:WORD_1
	v_cvt_f32_f16_e32 v12, v3
	v_cvt_f32_f16_sdwa v14, v4 dst_sel:DWORD dst_unused:UNUSED_PAD src0_sel:WORD_1
	v_cvt_f32_f16_e32 v10, v4
	v_cvt_f32_f16_sdwa v18, v5 dst_sel:DWORD dst_unused:UNUSED_PAD src0_sel:WORD_1
	v_cvt_f32_f16_e32 v16, v5
	s_and_saveexec_b64 s[2:3], vcc
	s_xor_b64 s[2:3], exec, s[2:3]
	s_cbranch_execz .LBB27_2
; %bb.1:
	v_add_u32_e32 v10, s14, v13
	s_add_i32 s11, s8, -1
	s_load_dwordx2 s[16:17], s[4:5], 0x20
	v_mov_b32_e32 v12, s11
	v_cmp_gt_i32_e32 vcc, s8, v10
	v_cndmask_b32_e32 v10, v12, v10, vcc
	s_ff1_i32_b32 s8, s9
	v_ashrrev_i32_e32 v12, s8, v10
	v_ashrrev_i32_e32 v13, 31, v12
	v_lshlrev_b64 v[12:13], 3, v[12:13]
	s_waitcnt lgkmcnt(0)
	v_mov_b32_e32 v10, s17
	v_add_co_u32_e32 v12, vcc, s16, v12
	v_addc_co_u32_e32 v13, vcc, v10, v13, vcc
	global_load_dwordx2 v[12:13], v[12:13], off
	s_load_dwordx4 s[16:19], s[4:5], 0x10
	s_lshr_b32 s4, s10, 31
	s_add_i32 s4, s10, s4
	s_ashr_i32 s4, s4, 1
	s_ashr_i32 s5, s4, 31
	v_subrev_u32_e32 v10, s13, v11
	v_lshrrev_b32_e32 v11, 31, v10
	v_add_u32_e32 v10, v10, v11
	s_waitcnt lgkmcnt(0)
	v_mov_b32_e32 v14, s17
	v_ashrrev_i32_e32 v10, 1, v10
	v_ashrrev_i32_e32 v11, 31, v10
	v_mov_b32_e32 v15, s19
	v_lshlrev_b64 v[10:11], 1, v[10:11]
	v_cvt_f32_f16_sdwa v25, v6 dst_sel:DWORD dst_unused:UNUSED_PAD src0_sel:WORD_1
	v_cvt_f32_f16_sdwa v44, v2 dst_sel:DWORD dst_unused:UNUSED_PAD src0_sel:WORD_1
	;; [unrolled: 1-line block ×3, first 2 shown]
	v_cvt_f32_f16_e32 v32, v3
	v_cvt_f32_f16_sdwa v35, v4 dst_sel:DWORD dst_unused:UNUSED_PAD src0_sel:WORD_1
	v_cvt_f32_f16_e32 v22, v9
	v_cvt_f32_f16_sdwa v37, v5 dst_sel:DWORD dst_unused:UNUSED_PAD src0_sel:WORD_1
	v_cvt_f32_f16_e32 v34, v4
	v_cvt_f32_f16_e32 v36, v5
	v_cvt_f32_f16_sdwa v23, v9 dst_sel:DWORD dst_unused:UNUSED_PAD src0_sel:WORD_1
	v_mov_b32_e32 v4, v35
	v_mov_b32_e32 v24, v37
	s_waitcnt vmcnt(0)
	v_mul_lo_u32 v16, v13, s4
	v_mul_lo_u32 v17, v12, s5
	v_mad_u64_u32 v[12:13], s[4:5], v12, s4, 0
	v_add3_u32 v13, v13, v17, v16
	v_lshlrev_b64 v[12:13], 1, v[12:13]
	v_add_co_u32_e32 v16, vcc, s16, v12
	v_addc_co_u32_e32 v14, vcc, v14, v13, vcc
	v_add_co_u32_e32 v12, vcc, s18, v12
	v_addc_co_u32_e32 v13, vcc, v15, v13, vcc
	;; [unrolled: 2-line block ×4, first 2 shown]
	global_load_dwordx4 v[14:17], v[18:19], off
	global_load_dwordx4 v[10:13], v[20:21], off
	v_cvt_f32_f16_sdwa v19, v7 dst_sel:DWORD dst_unused:UNUSED_PAD src0_sel:WORD_1
	v_cvt_f32_f16_e32 v18, v7
	v_cvt_f32_f16_sdwa v21, v8 dst_sel:DWORD dst_unused:UNUSED_PAD src0_sel:WORD_1
	v_cvt_f32_f16_e32 v20, v8
	s_waitcnt vmcnt(1)
	v_cvt_f32_f16_e32 v29, v15
	s_waitcnt vmcnt(0)
	v_cvt_f32_f16_e32 v45, v10
	v_cvt_f32_f16_sdwa v31, v15 dst_sel:DWORD dst_unused:UNUSED_PAD src0_sel:WORD_1
	v_cvt_f32_f16_e32 v15, v16
	v_cvt_f32_f16_e32 v46, v12
	v_cvt_f32_f16_sdwa v39, v16 dst_sel:DWORD dst_unused:UNUSED_PAD src0_sel:WORD_1
	v_cvt_f32_f16_sdwa v38, v12 dst_sel:DWORD dst_unused:UNUSED_PAD src0_sel:WORD_1
	v_cvt_f32_f16_e32 v5, v14
	v_cvt_f32_f16_sdwa v27, v14 dst_sel:DWORD dst_unused:UNUSED_PAD src0_sel:WORD_1
	v_cvt_f32_f16_sdwa v26, v10 dst_sel:DWORD dst_unused:UNUSED_PAD src0_sel:WORD_1
	v_cvt_f32_f16_e32 v28, v11
	v_cvt_f32_f16_e32 v41, v17
	;; [unrolled: 1-line block ×3, first 2 shown]
	v_cvt_f32_f16_sdwa v43, v17 dst_sel:DWORD dst_unused:UNUSED_PAD src0_sel:WORD_1
	v_cvt_f32_f16_sdwa v42, v13 dst_sel:DWORD dst_unused:UNUSED_PAD src0_sel:WORD_1
	;; [unrolled: 1-line block ×3, first 2 shown]
	v_mul_f32_e32 v13, v45, v25
	v_mul_f32_e32 v53, v46, v44
	;; [unrolled: 1-line block ×3, first 2 shown]
	v_pk_mul_f32 v[44:45], v[38:39], v[32:33]
	v_mul_f32_e32 v17, v5, v25
	v_mul_f32_e32 v25, v27, v18
	v_pk_mul_f32 v[18:19], v[26:27], v[18:19]
	v_mul_f32_e32 v26, v29, v20
	v_pk_mul_f32 v[20:21], v[28:29], v[20:21]
	v_mul_f32_e32 v52, v31, v22
	v_mov_b32_e32 v44, v41
	v_pk_mul_f32 v[4:5], v[4:5], v[40:41] op_sel_hi:[0,1]
	v_pk_mul_f32 v[46:47], v[40:41], v[34:35]
	v_pk_mul_f32 v[50:51], v[42:43], v[36:37]
	;; [unrolled: 1-line block ×3, first 2 shown]
	v_mov_b32_e32 v46, v43
	v_pk_mul_f32 v[48:49], v[24:25], v[42:43] op_sel_hi:[0,1]
	v_mul_f32_e32 v50, v39, v32
	v_fma_mix_f32 v31, v14, v6, -v13 op_sel_hi:[1,1,0]
	v_fma_mix_f32 v29, v10, v6, v17 op_sel_hi:[1,1,0]
	v_fma_mix_f32 v30, -v7, v10, v25 op_sel:[1,1,0] op_sel_hi:[1,1,0]
	v_fma_mix_f32 v27, -v8, v11, v26 op_sel:[1,0,0] op_sel_hi:[1,1,0]
	v_add_f32_e32 v25, v20, v21
	v_fma_mix_f32 v26, -v9, v11, v52 op_sel:[1,1,0] op_sel_hi:[1,1,0]
	v_fma_mix_f32 v13, v16, v2, -v53 op_sel_hi:[1,1,0]
	v_fma_mix_f32 v20, v12, v2, v15 op_sel_hi:[1,1,0]
	v_mov_b32_e32 v2, v45
	v_pk_fma_f32 v[10:11], v[44:45], v[34:35], v[4:5] op_sel_hi:[0,1,1] neg_lo:[0,0,1] neg_hi:[0,0,1]
	v_mov_b32_e32 v4, v47
	v_mov_b32_e32 v6, v51
	v_add_f32_e32 v28, v18, v19
	v_add_f32_e32 v24, v22, v23
	v_pk_fma_f32 v[16:17], v[46:47], v[36:37], v[48:49] op_sel_hi:[0,1,1] neg_lo:[0,0,1] neg_hi:[0,0,1]
	v_pk_fma_f32 v[22:23], v[38:39], v[32:33], v[2:3]
	v_pk_fma_f32 v[14:15], v[40:41], v[34:35], v[4:5]
	;; [unrolled: 1-line block ×3, first 2 shown]
	v_fma_mix_f32 v12, -v3, v12, v50 op_sel:[1,1,0] op_sel_hi:[1,1,0]
                                        ; implicit-def: $vgpr6_vgpr7_vgpr8_vgpr9
                                        ; implicit-def: $vgpr2_vgpr3_vgpr4_vgpr5
.LBB27_2:
	s_andn2_saveexec_b64 s[2:3], s[2:3]
; %bb.3:
	v_cvt_f32_f16_e32 v31, v6
	v_cvt_f32_f16_e32 v13, v2
; %bb.4:
	s_or_b64 exec, exec, s[2:3]
	v_mov_b32_e32 v6, v29
	v_mov_b32_e32 v7, v30
	;; [unrolled: 1-line block ×4, first 2 shown]
	v_pk_add_f32 v[2:3], v[30:31], v[28:29]
	v_pk_add_f32 v[4:5], v[30:31], v[28:29] neg_lo:[0,1] neg_hi:[0,1]
	v_pk_add_f32 v[28:29], v[6:7], v[8:9]
	v_pk_add_f32 v[6:7], v[6:7], v[8:9] neg_lo:[0,1] neg_hi:[0,1]
	;; [unrolled: 2-line block ×3, first 2 shown]
	v_mov_b32_e32 v32, v25
	v_mov_b32_e32 v33, v26
	;; [unrolled: 1-line block ×5, first 2 shown]
	v_pk_add_f32 v[24:25], v[32:33], v[26:27]
	v_pk_add_f32 v[26:27], v[32:33], v[26:27] neg_lo:[0,1] neg_hi:[0,1]
	v_pk_add_f32 v[32:33], v[12:13], v[22:23]
	v_pk_add_f32 v[34:35], v[12:13], v[22:23] neg_lo:[0,1] neg_hi:[0,1]
	v_mov_b32_e32 v21, v12
	v_mov_b32_e32 v12, v13
	;; [unrolled: 1-line block ×7, first 2 shown]
	v_pk_add_f32 v[22:23], v[20:21], v[12:13]
	v_pk_add_f32 v[12:13], v[20:21], v[12:13] neg_lo:[0,1] neg_hi:[0,1]
	v_pk_add_f32 v[20:21], v[16:17], v[18:19]
	v_pk_add_f32 v[36:37], v[16:17], v[18:19] neg_lo:[0,1] neg_hi:[0,1]
	v_pk_add_f32 v[16:17], v[14:15], v[10:11]
	v_pk_add_f32 v[10:11], v[14:15], v[10:11] neg_lo:[0,1] neg_hi:[0,1]
	v_mov_b32_e32 v3, v5
	v_mov_b32_e32 v29, v7
	;; [unrolled: 1-line block ×8, first 2 shown]
	v_pk_add_f32 v[14:15], v[28:29], v[2:3]
	v_pk_add_f32 v[18:19], v[24:25], v[8:9]
	;; [unrolled: 1-line block ×4, first 2 shown]
	v_mov_b32_e32 v29, v5
	v_mov_b32_e32 v3, v7
	;; [unrolled: 1-line block ×8, first 2 shown]
	v_pk_add_f32 v[2:3], v[28:29], v[2:3] neg_lo:[0,1] neg_hi:[0,1]
	v_pk_add_f32 v[4:5], v[24:25], v[8:9] neg_lo:[0,1] neg_hi:[0,1]
	;; [unrolled: 1-line block ×4, first 2 shown]
	v_pk_add_f32 v[42:43], v[14:15], v[18:19]
	v_pk_add_f32 v[44:45], v[38:39], v[40:41]
	;; [unrolled: 1-line block ×3, first 2 shown]
	v_pk_add_f32 v[2:3], v[2:3], v[4:5] neg_lo:[0,1] neg_hi:[0,1]
	v_pk_add_f32 v[4:5], v[6:7], v[8:9] neg_lo:[0,1] neg_hi:[0,1]
	v_pk_add_f32 v[46:47], v[42:43], v[44:45]
	v_pk_add_f32 v[12:13], v[6:7], v[8:9]
	;; [unrolled: 1-line block ×3, first 2 shown]
	v_pk_add_f32 v[2:3], v[2:3], v[4:5] neg_lo:[0,1] neg_hi:[0,1]
	v_and_b32_e32 v4, 1, v0
	v_sub_f32_dpp v5, v46, v46 quad_perm:[1,0,3,2] row_mask:0xf bank_mask:0xf bound_ctrl:1
	v_add_f32_dpp v8, v46, v46 quad_perm:[1,0,3,2] row_mask:0xf bank_mask:0xf bound_ctrl:1
	v_cmp_eq_u32_e32 vcc, 0, v4
	v_pk_add_f32 v[16:17], v[10:11], v[12:13]
	v_cndmask_b32_e32 v4, v5, v8, vcc
	v_sub_f32_dpp v5, v47, v47 quad_perm:[1,0,3,2] row_mask:0xf bank_mask:0xf bound_ctrl:1
	v_add_f32_dpp v8, v47, v47 quad_perm:[1,0,3,2] row_mask:0xf bank_mask:0xf bound_ctrl:1
	v_pk_add_f32 v[10:11], v[10:11], v[12:13] neg_lo:[0,1] neg_hi:[0,1]
	v_pk_add_f32 v[12:13], v[14:15], v[18:19] neg_lo:[0,1] neg_hi:[0,1]
	;; [unrolled: 1-line block ×3, first 2 shown]
	v_cndmask_b32_e32 v5, v5, v8, vcc
	v_sub_f32_dpp v8, v16, v16 quad_perm:[1,0,3,2] row_mask:0xf bank_mask:0xf bound_ctrl:1
	v_add_f32_dpp v9, v16, v16 quad_perm:[1,0,3,2] row_mask:0xf bank_mask:0xf bound_ctrl:1
	v_pk_add_f32 v[18:19], v[12:13], v[14:15]
	v_pk_add_f32 v[12:13], v[12:13], v[14:15] neg_lo:[0,1] neg_hi:[0,1]
	v_cndmask_b32_e32 v8, v8, v9, vcc
	v_sub_f32_dpp v9, v17, v17 quad_perm:[1,0,3,2] row_mask:0xf bank_mask:0xf bound_ctrl:1
	v_add_f32_dpp v14, v17, v17 quad_perm:[1,0,3,2] row_mask:0xf bank_mask:0xf bound_ctrl:1
	v_cndmask_b32_e32 v9, v9, v14, vcc
	v_add_f32_dpp v15, v18, v18 quad_perm:[1,0,3,2] row_mask:0xf bank_mask:0xf bound_ctrl:1
	v_sub_f32_dpp v14, v18, v18 quad_perm:[1,0,3,2] row_mask:0xf bank_mask:0xf bound_ctrl:1
	v_cndmask_b32_e32 v14, v14, v15, vcc
	v_sub_f32_dpp v15, v19, v19 quad_perm:[1,0,3,2] row_mask:0xf bank_mask:0xf bound_ctrl:1
	v_add_f32_dpp v16, v19, v19 quad_perm:[1,0,3,2] row_mask:0xf bank_mask:0xf bound_ctrl:1
	v_cndmask_b32_e32 v15, v15, v16, vcc
	v_pk_add_f32 v[42:43], v[42:43], v[44:45] neg_lo:[0,1] neg_hi:[0,1]
	v_sub_f32_dpp v16, v6, v6 quad_perm:[1,0,3,2] row_mask:0xf bank_mask:0xf bound_ctrl:1
	v_add_f32_dpp v6, v6, v6 quad_perm:[1,0,3,2] row_mask:0xf bank_mask:0xf bound_ctrl:1
	v_cndmask_b32_e32 v6, v16, v6, vcc
	v_sub_f32_dpp v16, v7, v7 quad_perm:[1,0,3,2] row_mask:0xf bank_mask:0xf bound_ctrl:1
	v_add_f32_dpp v7, v7, v7 quad_perm:[1,0,3,2] row_mask:0xf bank_mask:0xf bound_ctrl:1
	v_cndmask_b32_e32 v7, v16, v7, vcc
	;; [unrolled: 3-line block ×3, first 2 shown]
	v_add_f32_dpp v18, v43, v43 quad_perm:[1,0,3,2] row_mask:0xf bank_mask:0xf bound_ctrl:1
	v_sub_f32_dpp v17, v43, v43 quad_perm:[1,0,3,2] row_mask:0xf bank_mask:0xf bound_ctrl:1
	v_cndmask_b32_e32 v17, v17, v18, vcc
	v_sub_f32_dpp v18, v10, v10 quad_perm:[1,0,3,2] row_mask:0xf bank_mask:0xf bound_ctrl:1
	v_add_f32_dpp v10, v10, v10 quad_perm:[1,0,3,2] row_mask:0xf bank_mask:0xf bound_ctrl:1
	v_cndmask_b32_e32 v10, v18, v10, vcc
	v_sub_f32_dpp v18, v11, v11 quad_perm:[1,0,3,2] row_mask:0xf bank_mask:0xf bound_ctrl:1
	v_add_f32_dpp v11, v11, v11 quad_perm:[1,0,3,2] row_mask:0xf bank_mask:0xf bound_ctrl:1
	;; [unrolled: 3-line block ×6, first 2 shown]
	v_cndmask_b32_e32 v3, v18, v3, vcc
	v_and_b32_e32 v18, 2, v0
	v_cmp_eq_u32_e32 vcc, 0, v18
	v_sub_f32_dpp v19, v4, v4 quad_perm:[2,3,0,1] row_mask:0xf bank_mask:0xf bound_ctrl:1
	v_sub_f32_dpp v18, v5, v5 quad_perm:[2,3,0,1] row_mask:0xf bank_mask:0xf bound_ctrl:1
	v_add_f32_dpp v5, v5, v5 quad_perm:[2,3,0,1] row_mask:0xf bank_mask:0xf bound_ctrl:1
	v_cndmask_b32_e32 v5, v18, v5, vcc
	v_sub_f32_dpp v18, v8, v8 quad_perm:[2,3,0,1] row_mask:0xf bank_mask:0xf bound_ctrl:1
	v_add_f32_dpp v8, v8, v8 quad_perm:[2,3,0,1] row_mask:0xf bank_mask:0xf bound_ctrl:1
	v_cndmask_b32_e32 v8, v18, v8, vcc
	;; [unrolled: 3-line block ×12, first 2 shown]
	v_sub_f32_dpp v18, v13, v13 quad_perm:[2,3,0,1] row_mask:0xf bank_mask:0xf bound_ctrl:1
	v_add_f32_dpp v13, v13, v13 quad_perm:[2,3,0,1] row_mask:0xf bank_mask:0xf bound_ctrl:1
	v_add_f32_dpp v4, v4, v4 quad_perm:[2,3,0,1] row_mask:0xf bank_mask:0xf bound_ctrl:1
	v_cndmask_b32_e32 v13, v18, v13, vcc
	v_sub_f32_dpp v18, v2, v2 quad_perm:[2,3,0,1] row_mask:0xf bank_mask:0xf bound_ctrl:1
	v_add_f32_dpp v2, v2, v2 quad_perm:[2,3,0,1] row_mask:0xf bank_mask:0xf bound_ctrl:1
	v_cndmask_b32_e32 v4, v19, v4, vcc
	v_cndmask_b32_e32 v2, v18, v2, vcc
	v_sub_f32_dpp v18, v3, v3 quad_perm:[2,3,0,1] row_mask:0xf bank_mask:0xf bound_ctrl:1
	v_add_f32_dpp v3, v3, v3 quad_perm:[2,3,0,1] row_mask:0xf bank_mask:0xf bound_ctrl:1
	v_cndmask_b32_e32 v3, v18, v3, vcc
	v_mov_b32_dpp v18, v4 row_shl:4 row_mask:0xf bank_mask:0x5 bound_ctrl:1
	v_and_b32_e32 v19, 4, v0
	v_cmp_eq_u32_e32 vcc, 0, v19
	v_mov_b32_dpp v18, v4 row_shr:4 row_mask:0xf bank_mask:0xa bound_ctrl:1
	v_sub_f32_e32 v20, v18, v4
	v_add_f32_e32 v4, v4, v18
	v_mov_b32_dpp v18, v5 row_shl:4 row_mask:0xf bank_mask:0x5 bound_ctrl:1
	v_cndmask_b32_e32 v4, v20, v4, vcc
	v_and_b32_e32 v0, 8, v0
	v_mov_b32_dpp v18, v5 row_shr:4 row_mask:0xf bank_mask:0xa bound_ctrl:1
	v_sub_f32_e32 v19, v18, v5
	v_add_f32_e32 v5, v5, v18
	v_mov_b32_dpp v18, v8 row_shl:4 row_mask:0xf bank_mask:0x5 bound_ctrl:1
	v_cndmask_b32_e32 v5, v19, v5, vcc
	s_mov_b32 s4, 0x3d800000
	v_mov_b32_dpp v18, v8 row_shr:4 row_mask:0xf bank_mask:0xa bound_ctrl:1
	v_sub_f32_e32 v19, v18, v8
	v_add_f32_e32 v8, v8, v18
	v_mov_b32_dpp v18, v9 row_shl:4 row_mask:0xf bank_mask:0x5 bound_ctrl:1
	v_cndmask_b32_e32 v8, v19, v8, vcc
	s_add_u32 s0, s0, s6
	v_mov_b32_dpp v18, v9 row_shr:4 row_mask:0xf bank_mask:0xa bound_ctrl:1
	v_sub_f32_e32 v19, v18, v9
	v_add_f32_e32 v9, v9, v18
	v_mov_b32_dpp v18, v14 row_shl:4 row_mask:0xf bank_mask:0x5 bound_ctrl:1
	v_cndmask_b32_e32 v9, v19, v9, vcc
	s_addc_u32 s1, s1, s7
	v_mov_b32_dpp v18, v14 row_shr:4 row_mask:0xf bank_mask:0xa bound_ctrl:1
	v_sub_f32_e32 v19, v18, v14
	v_add_f32_e32 v14, v14, v18
	v_mov_b32_dpp v18, v15 row_shl:4 row_mask:0xf bank_mask:0x5 bound_ctrl:1
	v_cndmask_b32_e32 v14, v19, v14, vcc
	s_lshl_b32 s2, s12, 9
	v_mov_b32_dpp v18, v15 row_shr:4 row_mask:0xf bank_mask:0xa bound_ctrl:1
	v_sub_f32_e32 v19, v18, v15
	v_add_f32_e32 v15, v15, v18
	v_mov_b32_dpp v18, v6 row_shl:4 row_mask:0xf bank_mask:0x5 bound_ctrl:1
	v_cndmask_b32_e32 v15, v19, v15, vcc
	s_and_b32 s1, s1, 0xffff
	v_mov_b32_dpp v18, v6 row_shr:4 row_mask:0xf bank_mask:0xa bound_ctrl:1
	v_sub_f32_e32 v19, v18, v6
	v_add_f32_e32 v6, v6, v18
	v_cndmask_b32_e32 v18, v19, v6, vcc
	s_mov_b32 s3, 0x20000
	v_mov_b32_dpp v6, v7 row_shl:4 row_mask:0xf bank_mask:0x5 bound_ctrl:1
	s_nop 1
	v_mov_b32_dpp v6, v7 row_shr:4 row_mask:0xf bank_mask:0xa bound_ctrl:1
	v_sub_f32_e32 v19, v6, v7
	v_add_f32_e32 v6, v7, v6
	v_cndmask_b32_e32 v19, v19, v6, vcc
	s_nop 0
	v_mov_b32_dpp v6, v16 row_shl:4 row_mask:0xf bank_mask:0x5 bound_ctrl:1
	s_nop 1
	v_mov_b32_dpp v6, v16 row_shr:4 row_mask:0xf bank_mask:0xa bound_ctrl:1
	v_sub_f32_e32 v7, v6, v16
	v_add_f32_e32 v6, v16, v6
	v_cndmask_b32_e32 v16, v7, v6, vcc
	s_nop 0
	v_mov_b32_dpp v6, v17 row_shl:4 row_mask:0xf bank_mask:0x5 bound_ctrl:1
	s_nop 1
	v_mov_b32_dpp v6, v17 row_shr:4 row_mask:0xf bank_mask:0xa bound_ctrl:1
	v_sub_f32_e32 v7, v6, v17
	v_add_f32_e32 v6, v17, v6
	v_cndmask_b32_e32 v17, v7, v6, vcc
	s_nop 0
	v_mov_b32_dpp v6, v10 row_shl:4 row_mask:0xf bank_mask:0x5 bound_ctrl:1
	s_nop 1
	v_mov_b32_dpp v6, v10 row_shr:4 row_mask:0xf bank_mask:0xa bound_ctrl:1
	v_sub_f32_e32 v7, v6, v10
	v_add_f32_e32 v6, v10, v6
	v_cndmask_b32_e32 v10, v7, v6, vcc
	s_nop 0
	v_mov_b32_dpp v6, v11 row_shl:4 row_mask:0xf bank_mask:0x5 bound_ctrl:1
	s_nop 1
	v_mov_b32_dpp v6, v11 row_shr:4 row_mask:0xf bank_mask:0xa bound_ctrl:1
	v_sub_f32_e32 v7, v6, v11
	v_add_f32_e32 v6, v11, v6
	v_cndmask_b32_e32 v11, v7, v6, vcc
	s_nop 0
	v_mov_b32_dpp v6, v12 row_shl:4 row_mask:0xf bank_mask:0x5 bound_ctrl:1
	s_nop 1
	v_mov_b32_dpp v6, v12 row_shr:4 row_mask:0xf bank_mask:0xa bound_ctrl:1
	v_sub_f32_e32 v7, v6, v12
	v_add_f32_e32 v6, v12, v6
	v_cndmask_b32_e32 v12, v7, v6, vcc
	s_nop 0
	v_mov_b32_dpp v6, v13 row_shl:4 row_mask:0xf bank_mask:0x5 bound_ctrl:1
	s_nop 1
	v_mov_b32_dpp v6, v13 row_shr:4 row_mask:0xf bank_mask:0xa bound_ctrl:1
	v_sub_f32_e32 v7, v6, v13
	v_add_f32_e32 v6, v13, v6
	v_cndmask_b32_e32 v13, v7, v6, vcc
	s_nop 0
	v_mov_b32_dpp v6, v2 row_shl:4 row_mask:0xf bank_mask:0x5 bound_ctrl:1
	s_nop 1
	v_mov_b32_dpp v6, v2 row_shr:4 row_mask:0xf bank_mask:0xa bound_ctrl:1
	v_sub_f32_e32 v7, v6, v2
	v_add_f32_e32 v2, v2, v6
	v_cndmask_b32_e32 v20, v7, v2, vcc
	v_add_f32_dpp v7, v15, v15 row_ror:8 row_mask:0xf bank_mask:0xf bound_ctrl:1
	v_mov_b32_dpp v2, v3 row_shl:4 row_mask:0xf bank_mask:0x5 bound_ctrl:1
	s_nop 1
	v_mov_b32_dpp v2, v3 row_shr:4 row_mask:0xf bank_mask:0xa bound_ctrl:1
	v_sub_f32_e32 v6, v2, v3
	v_add_f32_e32 v2, v3, v2
	v_cndmask_b32_e32 v21, v6, v2, vcc
	v_add_f32_dpp v3, v4, v4 row_ror:8 row_mask:0xf bank_mask:0xf bound_ctrl:1
	v_sub_f32_dpp v2, v4, v4 row_ror:8 row_mask:0xf bank_mask:0xf bound_ctrl:1
	v_cmp_eq_u32_e32 vcc, 0, v0
	v_cndmask_b32_e32 v0, v2, v3, vcc
	v_sub_f32_dpp v2, v5, v5 row_ror:8 row_mask:0xf bank_mask:0xf bound_ctrl:1
	v_add_f32_dpp v3, v5, v5 row_ror:8 row_mask:0xf bank_mask:0xf bound_ctrl:1
	v_cndmask_b32_e32 v2, v2, v3, vcc
	v_add_f32_dpp v4, v8, v8 row_ror:8 row_mask:0xf bank_mask:0xf bound_ctrl:1
	v_sub_f32_dpp v3, v8, v8 row_ror:8 row_mask:0xf bank_mask:0xf bound_ctrl:1
	v_cndmask_b32_e32 v3, v3, v4, vcc
	v_sub_f32_dpp v4, v9, v9 row_ror:8 row_mask:0xf bank_mask:0xf bound_ctrl:1
	v_add_f32_dpp v5, v9, v9 row_ror:8 row_mask:0xf bank_mask:0xf bound_ctrl:1
	v_cndmask_b32_e32 v4, v4, v5, vcc
	v_add_f32_dpp v6, v14, v14 row_ror:8 row_mask:0xf bank_mask:0xf bound_ctrl:1
	v_sub_f32_dpp v5, v14, v14 row_ror:8 row_mask:0xf bank_mask:0xf bound_ctrl:1
	v_cndmask_b32_e32 v5, v5, v6, vcc
	v_sub_f32_dpp v6, v15, v15 row_ror:8 row_mask:0xf bank_mask:0xf bound_ctrl:1
	v_cndmask_b32_e32 v6, v6, v7, vcc
	v_sub_f32_dpp v7, v18, v18 row_ror:8 row_mask:0xf bank_mask:0xf bound_ctrl:1
	v_add_f32_dpp v8, v18, v18 row_ror:8 row_mask:0xf bank_mask:0xf bound_ctrl:1
	v_cndmask_b32_e32 v7, v7, v8, vcc
	v_add_f32_dpp v9, v19, v19 row_ror:8 row_mask:0xf bank_mask:0xf bound_ctrl:1
	v_sub_f32_dpp v8, v19, v19 row_ror:8 row_mask:0xf bank_mask:0xf bound_ctrl:1
	v_cndmask_b32_e32 v14, v8, v9, vcc
	v_add_f32_dpp v9, v16, v16 row_ror:8 row_mask:0xf bank_mask:0xf bound_ctrl:1
	v_sub_f32_dpp v8, v16, v16 row_ror:8 row_mask:0xf bank_mask:0xf bound_ctrl:1
	;; [unrolled: 3-line block ×3, first 2 shown]
	v_cndmask_b32_e32 v8, v8, v9, vcc
	v_sub_f32_dpp v9, v10, v10 row_ror:8 row_mask:0xf bank_mask:0xf bound_ctrl:1
	v_add_f32_dpp v10, v10, v10 row_ror:8 row_mask:0xf bank_mask:0xf bound_ctrl:1
	v_cndmask_b32_e32 v9, v9, v10, vcc
	v_add_f32_dpp v16, v20, v20 row_ror:8 row_mask:0xf bank_mask:0xf bound_ctrl:1
	v_sub_f32_dpp v10, v11, v11 row_ror:8 row_mask:0xf bank_mask:0xf bound_ctrl:1
	v_add_f32_dpp v11, v11, v11 row_ror:8 row_mask:0xf bank_mask:0xf bound_ctrl:1
	v_cndmask_b32_e32 v10, v10, v11, vcc
	v_add_f32_dpp v17, v21, v21 row_ror:8 row_mask:0xf bank_mask:0xf bound_ctrl:1
	v_sub_f32_dpp v11, v12, v12 row_ror:8 row_mask:0xf bank_mask:0xf bound_ctrl:1
	v_add_f32_dpp v12, v12, v12 row_ror:8 row_mask:0xf bank_mask:0xf bound_ctrl:1
	v_cndmask_b32_e32 v11, v11, v12, vcc
	v_pk_mul_f32 v[2:3], v[2:3], s[4:5] op_sel_hi:[1,0]
	v_sub_f32_dpp v12, v13, v13 row_ror:8 row_mask:0xf bank_mask:0xf bound_ctrl:1
	v_add_f32_dpp v13, v13, v13 row_ror:8 row_mask:0xf bank_mask:0xf bound_ctrl:1
	v_cndmask_b32_e32 v12, v12, v13, vcc
	v_pk_mul_f32 v[4:5], v[4:5], s[4:5] op_sel_hi:[1,0]
	v_sub_f32_dpp v13, v20, v20 row_ror:8 row_mask:0xf bank_mask:0xf bound_ctrl:1
	v_cndmask_b32_e32 v13, v13, v16, vcc
	v_sub_f32_dpp v16, v21, v21 row_ror:8 row_mask:0xf bank_mask:0xf bound_ctrl:1
	v_pk_mul_f32 v[6:7], v[6:7], s[4:5] op_sel_hi:[1,0]
	v_cndmask_b32_e32 v16, v16, v17, vcc
	v_cvt_f16_f32_e32 v3, v3
	v_cvt_f16_f32_e32 v17, v5
	;; [unrolled: 1-line block ×6, first 2 shown]
	v_fma_mixlo_f16 v0, v0, s4, 0
	v_pack_b32_f16 v4, v17, v6
	v_pack_b32_f16 v3, v3, v18
	;; [unrolled: 1-line block ×3, first 2 shown]
	v_fma_mixhi_f16 v5, v14, s4, 0
	buffer_store_dwordx4 v[2:5], v1, s[0:3], 0 offen
	v_pk_mul_f32 v[6:7], v[12:13], s[4:5] op_sel_hi:[1,0]
	v_pk_mul_f32 v[2:3], v[8:9], s[4:5] op_sel_hi:[1,0]
	;; [unrolled: 1-line block ×3, first 2 shown]
	v_cvt_f16_f32_e32 v3, v3
	v_cvt_f16_f32_e32 v8, v5
	;; [unrolled: 1-line block ×6, first 2 shown]
	v_fma_mixlo_f16 v0, v15, s4, 0
	v_pack_b32_f16 v4, v8, v6
	v_pack_b32_f16 v3, v3, v9
	v_pack_b32_f16 v2, v0, v2
	v_fma_mixhi_f16 v5, v16, s4, 0
	;;#ASMSTART
	s_nop 0
	;;#ASMEND
	buffer_store_dwordx4 v[2:5], v1, s[0:3], 16 offen
	;;#ASMSTART
	s_nop 0
	;;#ASMEND
	s_endpgm
	.section	.rodata,"a",@progbits
	.p2align	6, 0x0
	.amdhsa_kernel _ZN5aiter55rope_hadamard_rotate_activation_fp4quant_inplace_kernelIDF16_Li256ELb0ELi16EEEvPT_PKS1_S4_S4_PKliiiii
		.amdhsa_group_segment_fixed_size 0
		.amdhsa_private_segment_fixed_size 0
		.amdhsa_kernarg_size 60
		.amdhsa_user_sgpr_count 6
		.amdhsa_user_sgpr_private_segment_buffer 1
		.amdhsa_user_sgpr_dispatch_ptr 0
		.amdhsa_user_sgpr_queue_ptr 0
		.amdhsa_user_sgpr_kernarg_segment_ptr 1
		.amdhsa_user_sgpr_dispatch_id 0
		.amdhsa_user_sgpr_flat_scratch_init 0
		.amdhsa_user_sgpr_kernarg_preload_length 0
		.amdhsa_user_sgpr_kernarg_preload_offset 0
		.amdhsa_user_sgpr_private_segment_size 0
		.amdhsa_uses_dynamic_stack 0
		.amdhsa_system_sgpr_private_segment_wavefront_offset 0
		.amdhsa_system_sgpr_workgroup_id_x 1
		.amdhsa_system_sgpr_workgroup_id_y 0
		.amdhsa_system_sgpr_workgroup_id_z 0
		.amdhsa_system_sgpr_workgroup_info 0
		.amdhsa_system_vgpr_workitem_id 0
		.amdhsa_next_free_vgpr 54
		.amdhsa_next_free_sgpr 20
		.amdhsa_accum_offset 56
		.amdhsa_reserve_vcc 1
		.amdhsa_reserve_flat_scratch 0
		.amdhsa_float_round_mode_32 0
		.amdhsa_float_round_mode_16_64 0
		.amdhsa_float_denorm_mode_32 3
		.amdhsa_float_denorm_mode_16_64 3
		.amdhsa_dx10_clamp 1
		.amdhsa_ieee_mode 1
		.amdhsa_fp16_overflow 0
		.amdhsa_tg_split 0
		.amdhsa_exception_fp_ieee_invalid_op 0
		.amdhsa_exception_fp_denorm_src 0
		.amdhsa_exception_fp_ieee_div_zero 0
		.amdhsa_exception_fp_ieee_overflow 0
		.amdhsa_exception_fp_ieee_underflow 0
		.amdhsa_exception_fp_ieee_inexact 0
		.amdhsa_exception_int_div_zero 0
	.end_amdhsa_kernel
	.section	.text._ZN5aiter55rope_hadamard_rotate_activation_fp4quant_inplace_kernelIDF16_Li256ELb0ELi16EEEvPT_PKS1_S4_S4_PKliiiii,"axG",@progbits,_ZN5aiter55rope_hadamard_rotate_activation_fp4quant_inplace_kernelIDF16_Li256ELb0ELi16EEEvPT_PKS1_S4_S4_PKliiiii,comdat
.Lfunc_end27:
	.size	_ZN5aiter55rope_hadamard_rotate_activation_fp4quant_inplace_kernelIDF16_Li256ELb0ELi16EEEvPT_PKS1_S4_S4_PKliiiii, .Lfunc_end27-_ZN5aiter55rope_hadamard_rotate_activation_fp4quant_inplace_kernelIDF16_Li256ELb0ELi16EEEvPT_PKS1_S4_S4_PKliiiii
                                        ; -- End function
	.section	.AMDGPU.csdata,"",@progbits
; Kernel info:
; codeLenInByte = 3108
; NumSgprs: 24
; NumVgprs: 54
; NumAgprs: 0
; TotalNumVgprs: 54
; ScratchSize: 0
; MemoryBound: 0
; FloatMode: 240
; IeeeMode: 1
; LDSByteSize: 0 bytes/workgroup (compile time only)
; SGPRBlocks: 2
; VGPRBlocks: 6
; NumSGPRsForWavesPerEU: 24
; NumVGPRsForWavesPerEU: 54
; AccumOffset: 56
; Occupancy: 8
; WaveLimiterHint : 1
; COMPUTE_PGM_RSRC2:SCRATCH_EN: 0
; COMPUTE_PGM_RSRC2:USER_SGPR: 6
; COMPUTE_PGM_RSRC2:TRAP_HANDLER: 0
; COMPUTE_PGM_RSRC2:TGID_X_EN: 1
; COMPUTE_PGM_RSRC2:TGID_Y_EN: 0
; COMPUTE_PGM_RSRC2:TGID_Z_EN: 0
; COMPUTE_PGM_RSRC2:TIDIG_COMP_CNT: 0
; COMPUTE_PGM_RSRC3_GFX90A:ACCUM_OFFSET: 13
; COMPUTE_PGM_RSRC3_GFX90A:TG_SPLIT: 0
	.section	.text._ZN5aiter55rope_hadamard_rotate_activation_fp4quant_inplace_kernelItLi256ELb0ELi16EEEvPT_PKS1_S4_S4_PKliiiii,"axG",@progbits,_ZN5aiter55rope_hadamard_rotate_activation_fp4quant_inplace_kernelItLi256ELb0ELi16EEEvPT_PKS1_S4_S4_PKliiiii,comdat
	.protected	_ZN5aiter55rope_hadamard_rotate_activation_fp4quant_inplace_kernelItLi256ELb0ELi16EEEvPT_PKS1_S4_S4_PKliiiii ; -- Begin function _ZN5aiter55rope_hadamard_rotate_activation_fp4quant_inplace_kernelItLi256ELb0ELi16EEEvPT_PKS1_S4_S4_PKliiiii
	.globl	_ZN5aiter55rope_hadamard_rotate_activation_fp4quant_inplace_kernelItLi256ELb0ELi16EEEvPT_PKS1_S4_S4_PKliiiii
	.p2align	8
	.type	_ZN5aiter55rope_hadamard_rotate_activation_fp4quant_inplace_kernelItLi256ELb0ELi16EEEvPT_PKS1_S4_S4_PKliiiii,@function
_ZN5aiter55rope_hadamard_rotate_activation_fp4quant_inplace_kernelItLi256ELb0ELi16EEEvPT_PKS1_S4_S4_PKliiiii: ; @_ZN5aiter55rope_hadamard_rotate_activation_fp4quant_inplace_kernelItLi256ELb0ELi16EEEvPT_PKS1_S4_S4_PKliiiii
; %bb.0:
	s_load_dwordx4 s[8:11], s[4:5], 0x28
	s_load_dwordx4 s[0:3], s[4:5], 0x0
	s_lshl_b32 s14, s6, 2
	s_mov_b32 s19, 0x20000
	v_lshlrev_b32_e32 v1, 5, v0
	s_waitcnt lgkmcnt(0)
	s_sub_i32 s6, s8, s14
	s_min_i32 s12, s6, 4
	s_mul_hi_i32 s7, s11, s14
	s_mul_i32 s6, s11, s14
	s_sub_i32 s13, 0x100, s10
	s_lshl_b64 s[6:7], s[6:7], 1
	s_add_u32 s16, s2, s6
	s_addc_u32 s2, s3, s7
	s_mul_i32 s3, s12, s11
	s_lshl_b32 s18, s3, 1
	s_and_b32 s17, s2, 0xffff
	buffer_load_dwordx4 v[6:9], v1, s[16:19], 0 offen
	buffer_load_dwordx4 v[2:5], v1, s[16:19], 16 offen
	v_lshrrev_b32_e32 v12, 4, v0
	v_lshlrev_b32_e32 v11, 4, v0
	v_lshlrev_b32_e32 v15, 8, v12
	v_sub_u32_e32 v11, v11, v15
	v_cmp_le_i32_e32 vcc, s13, v11
	s_waitcnt vmcnt(1)
	v_cvt_f32_u32_sdwa v39, v6 dst_sel:DWORD dst_unused:UNUSED_PAD src0_sel:WORD_1
	v_cvt_f32_u32_sdwa v37, v6 dst_sel:DWORD dst_unused:UNUSED_PAD src0_sel:WORD_0
	v_cvt_f32_u32_sdwa v35, v7 dst_sel:DWORD dst_unused:UNUSED_PAD src0_sel:WORD_1
	v_cvt_f32_u32_sdwa v36, v7 dst_sel:DWORD dst_unused:UNUSED_PAD src0_sel:WORD_0
	;; [unrolled: 2-line block ×4, first 2 shown]
	s_waitcnt vmcnt(0)
	v_cvt_f32_u32_sdwa v23, v3 dst_sel:DWORD dst_unused:UNUSED_PAD src0_sel:WORD_0
	v_cvt_f32_u32_sdwa v18, v2 dst_sel:DWORD dst_unused:UNUSED_PAD src0_sel:WORD_0
	v_cvt_f32_u32_sdwa v25, v3 dst_sel:DWORD dst_unused:UNUSED_PAD src0_sel:WORD_1
	v_cvt_f32_u32_sdwa v20, v2 dst_sel:DWORD dst_unused:UNUSED_PAD src0_sel:WORD_1
	;; [unrolled: 1-line block ×3, first 2 shown]
	v_cvt_f32_u32_sdwa v10, v4 dst_sel:DWORD dst_unused:UNUSED_PAD src0_sel:WORD_0
	v_cvt_f32_u32_sdwa v14, v5 dst_sel:DWORD dst_unused:UNUSED_PAD src0_sel:WORD_1
	v_cvt_f32_u32_sdwa v16, v5 dst_sel:DWORD dst_unused:UNUSED_PAD src0_sel:WORD_0
	s_and_saveexec_b64 s[2:3], vcc
	s_xor_b64 s[2:3], exec, s[2:3]
	s_cbranch_execz .LBB28_2
; %bb.1:
	v_add_u32_e32 v10, s14, v12
	s_add_i32 s11, s8, -1
	s_load_dwordx2 s[16:17], s[4:5], 0x20
	v_mov_b32_e32 v12, s11
	v_cmp_gt_i32_e32 vcc, s8, v10
	v_cndmask_b32_e32 v10, v12, v10, vcc
	s_ff1_i32_b32 s8, s9
	v_ashrrev_i32_e32 v12, s8, v10
	v_ashrrev_i32_e32 v13, 31, v12
	v_lshlrev_b64 v[12:13], 3, v[12:13]
	s_waitcnt lgkmcnt(0)
	v_mov_b32_e32 v10, s17
	v_add_co_u32_e32 v12, vcc, s16, v12
	v_addc_co_u32_e32 v13, vcc, v10, v13, vcc
	global_load_dwordx2 v[12:13], v[12:13], off
	s_load_dwordx4 s[16:19], s[4:5], 0x10
	s_lshr_b32 s4, s10, 31
	s_add_i32 s4, s10, s4
	s_ashr_i32 s4, s4, 1
	s_ashr_i32 s5, s4, 31
	v_subrev_u32_e32 v10, s13, v11
	v_lshrrev_b32_e32 v11, 31, v10
	v_add_u32_e32 v10, v10, v11
	s_waitcnt lgkmcnt(0)
	v_mov_b32_e32 v14, s17
	v_ashrrev_i32_e32 v10, 1, v10
	v_ashrrev_i32_e32 v11, 31, v10
	v_mov_b32_e32 v15, s19
	v_lshlrev_b64 v[10:11], 1, v[10:11]
	v_cvt_f32_u32_sdwa v41, v6 dst_sel:DWORD dst_unused:UNUSED_PAD src0_sel:WORD_1
	v_cvt_f32_u32_sdwa v40, v6 dst_sel:DWORD dst_unused:UNUSED_PAD src0_sel:WORD_0
	v_cvt_f32_u32_sdwa v6, v8 dst_sel:DWORD dst_unused:UNUSED_PAD src0_sel:WORD_0
	v_cvt_f32_u32_sdwa v43, v5 dst_sel:DWORD dst_unused:UNUSED_PAD src0_sel:WORD_1
	v_cvt_f32_u32_sdwa v42, v5 dst_sel:DWORD dst_unused:UNUSED_PAD src0_sel:WORD_0
	v_cvt_f32_u32_sdwa v39, v4 dst_sel:DWORD dst_unused:UNUSED_PAD src0_sel:WORD_1
	v_cvt_f32_u32_sdwa v38, v4 dst_sel:DWORD dst_unused:UNUSED_PAD src0_sel:WORD_0
	v_mov_b32_e32 v4, v43
	s_waitcnt vmcnt(0)
	v_mul_lo_u32 v16, v13, s4
	v_mul_lo_u32 v17, v12, s5
	v_mad_u64_u32 v[12:13], s[4:5], v12, s4, 0
	v_add3_u32 v13, v13, v17, v16
	v_lshlrev_b64 v[12:13], 1, v[12:13]
	v_add_co_u32_e32 v16, vcc, s16, v12
	v_addc_co_u32_e32 v14, vcc, v14, v13, vcc
	v_add_co_u32_e32 v12, vcc, s18, v12
	v_addc_co_u32_e32 v13, vcc, v15, v13, vcc
	;; [unrolled: 2-line block ×4, first 2 shown]
	global_load_dwordx4 v[10:13], v[18:19], off
	global_load_dwordx4 v[14:17], v[20:21], off
	v_cvt_f32_u32_sdwa v19, v7 dst_sel:DWORD dst_unused:UNUSED_PAD src0_sel:WORD_1
	v_cvt_f32_u32_sdwa v18, v7 dst_sel:DWORD dst_unused:UNUSED_PAD src0_sel:WORD_0
	v_cvt_f32_u32_sdwa v7, v8 dst_sel:DWORD dst_unused:UNUSED_PAD src0_sel:WORD_1
	v_cvt_f32_u32_sdwa v21, v9 dst_sel:DWORD dst_unused:UNUSED_PAD src0_sel:WORD_1
	v_cvt_f32_u32_sdwa v20, v9 dst_sel:DWORD dst_unused:UNUSED_PAD src0_sel:WORD_0
	v_cvt_f32_u32_sdwa v9, v3 dst_sel:DWORD dst_unused:UNUSED_PAD src0_sel:WORD_0
	;; [unrolled: 1-line block ×3, first 2 shown]
	v_cvt_f32_u32_sdwa v3, v3 dst_sel:DWORD dst_unused:UNUSED_PAD src0_sel:WORD_1
	v_cvt_f32_u32_sdwa v2, v2 dst_sel:DWORD dst_unused:UNUSED_PAD src0_sel:WORD_1
	s_waitcnt vmcnt(1)
	v_cvt_f32_u32_sdwa v45, v10 dst_sel:DWORD dst_unused:UNUSED_PAD src0_sel:WORD_0
	s_waitcnt vmcnt(0)
	v_cvt_f32_u32_sdwa v44, v14 dst_sel:DWORD dst_unused:UNUSED_PAD src0_sel:WORD_0
	v_cvt_f32_u32_sdwa v14, v14 dst_sel:DWORD dst_unused:UNUSED_PAD src0_sel:WORD_1
	v_cvt_f32_u32_sdwa v24, v15 dst_sel:DWORD dst_unused:UNUSED_PAD src0_sel:WORD_0
	v_cvt_f32_u32_sdwa v26, v15 dst_sel:DWORD dst_unused:UNUSED_PAD src0_sel:WORD_1
	v_cvt_f32_u32_sdwa v47, v16 dst_sel:DWORD dst_unused:UNUSED_PAD src0_sel:WORD_1
	v_cvt_f32_u32_sdwa v46, v12 dst_sel:DWORD dst_unused:UNUSED_PAD src0_sel:WORD_0
	v_cvt_f32_u32_sdwa v49, v12 dst_sel:DWORD dst_unused:UNUSED_PAD src0_sel:WORD_1
	v_cvt_f32_u32_sdwa v48, v16 dst_sel:DWORD dst_unused:UNUSED_PAD src0_sel:WORD_0
	v_cvt_f32_u32_sdwa v51, v13 dst_sel:DWORD dst_unused:UNUSED_PAD src0_sel:WORD_1
	v_cvt_f32_u32_sdwa v50, v17 dst_sel:DWORD dst_unused:UNUSED_PAD src0_sel:WORD_1
	;; [unrolled: 1-line block ×3, first 2 shown]
	v_cvt_f32_u32_sdwa v22, v11 dst_sel:DWORD dst_unused:UNUSED_PAD src0_sel:WORD_0
	v_cvt_f32_u32_sdwa v30, v11 dst_sel:DWORD dst_unused:UNUSED_PAD src0_sel:WORD_1
	v_cvt_f32_u32_sdwa v16, v17 dst_sel:DWORD dst_unused:UNUSED_PAD src0_sel:WORD_0
	v_cvt_f32_u32_sdwa v12, v13 dst_sel:DWORD dst_unused:UNUSED_PAD src0_sel:WORD_0
	v_pk_mul_f32 v[28:29], v[44:45], v[40:41]
	v_pk_mul_f32 v[14:15], v[14:15], v[18:19] op_sel_hi:[0,1]
	v_pk_mul_f32 v[24:25], v[24:25], v[6:7] op_sel_hi:[0,1]
	;; [unrolled: 1-line block ×3, first 2 shown]
	v_pk_mul_f32 v[54:55], v[48:49], v[2:3]
	v_pk_mul_f32 v[2:3], v[46:47], v[2:3]
	;; [unrolled: 1-line block ×3, first 2 shown]
	v_pk_mul_f32 v[16:17], v[16:17], v[38:39] op_sel_hi:[0,1]
	v_mov_b32_e32 v56, v51
	v_pk_mul_f32 v[4:5], v[4:5], v[50:51] op_sel_hi:[0,1]
	v_mul_f32_e32 v58, v45, v40
	v_mov_b32_e32 v57, v28
	v_pk_fma_f32 v[36:37], v[10:11], v[18:19], v[14:15] op_sel:[0,0,1] op_sel_hi:[0,1,0] neg_lo:[0,0,1] neg_hi:[0,0,1]
	v_pk_fma_f32 v[26:27], v[22:23], v[6:7], v[24:25] op_sel:[0,0,1] op_sel_hi:[0,1,0] neg_lo:[0,0,1] neg_hi:[0,0,1]
	v_pk_fma_f32 v[28:29], v[22:23], v[6:7], v[24:25] op_sel:[0,0,1] op_sel_hi:[0,1,0]
	v_pk_fma_f32 v[32:33], v[30:31], v[20:21], v[52:53] op_sel:[0,0,1] op_sel_hi:[0,1,0] neg_lo:[0,0,1] neg_hi:[0,0,1]
	v_pk_fma_f32 v[30:31], v[30:31], v[20:21], v[52:53] op_sel:[0,0,1] op_sel_hi:[0,1,0]
	v_pk_fma_f32 v[20:21], v[48:49], v[8:9], v[2:3]
	v_pk_fma_f32 v[22:23], v[48:49], v[8:9], v[2:3] neg_lo:[0,0,1] neg_hi:[0,0,1]
	v_mov_b32_e32 v2, v59
	v_pk_fma_f32 v[34:35], v[10:11], v[18:19], v[14:15] op_sel:[0,0,1] op_sel_hi:[0,1,0]
	v_pk_fma_f32 v[18:19], v[46:47], v[8:9], v[54:55] neg_lo:[0,0,1] neg_hi:[0,0,1]
	v_pk_fma_f32 v[24:25], v[46:47], v[8:9], v[54:55]
	v_pk_fma_f32 v[10:11], v[12:13], v[38:39], v[16:17] op_sel:[0,0,1] op_sel_hi:[0,1,0] neg_lo:[0,0,1] neg_hi:[0,0,1]
	v_pk_fma_f32 v[12:13], v[12:13], v[38:39], v[16:17] op_sel:[0,0,1] op_sel_hi:[0,1,0]
	v_pk_fma_f32 v[16:17], v[56:57], v[42:43], v[4:5] op_sel_hi:[0,1,1] neg_lo:[0,0,1] neg_hi:[0,0,1]
	v_pk_fma_f32 v[38:39], v[44:45], v[40:41], v[56:57]
	v_pk_fma_f32 v[14:15], v[50:51], v[42:43], v[2:3]
	v_fma_f32 v37, -v41, v44, v58
.LBB28_2:
	s_andn2_saveexec_b64 s[2:3], s[2:3]
	s_or_b64 exec, exec, s[2:3]
	v_mov_b32_e32 v38, v35
	v_mov_b32_e32 v6, v39
	;; [unrolled: 1-line block ×6, first 2 shown]
	v_pk_add_f32 v[2:3], v[36:37], v[38:39]
	v_pk_add_f32 v[4:5], v[36:37], v[38:39] neg_lo:[0,1] neg_hi:[0,1]
	v_pk_add_f32 v[8:9], v[6:7], v[34:35]
	v_pk_add_f32 v[6:7], v[6:7], v[34:35] neg_lo:[0,1] neg_hi:[0,1]
	;; [unrolled: 2-line block ×3, first 2 shown]
	v_mov_b32_e32 v28, v29
	v_mov_b32_e32 v29, v32
	;; [unrolled: 1-line block ×3, first 2 shown]
	v_pk_add_f32 v[30:31], v[28:29], v[26:27]
	v_pk_add_f32 v[26:27], v[28:29], v[26:27] neg_lo:[0,1] neg_hi:[0,1]
	v_mov_b32_e32 v28, v23
	v_mov_b32_e32 v29, v18
	;; [unrolled: 1-line block ×11, first 2 shown]
	v_pk_add_f32 v[38:39], v[28:29], v[32:33]
	v_pk_add_f32 v[28:29], v[28:29], v[32:33] neg_lo:[0,1] neg_hi:[0,1]
	v_pk_add_f32 v[22:23], v[20:21], v[18:19]
	v_pk_add_f32 v[18:19], v[20:21], v[18:19] neg_lo:[0,1] neg_hi:[0,1]
	;; [unrolled: 2-line block ×4, first 2 shown]
	v_mov_b32_e32 v3, v5
	v_mov_b32_e32 v9, v7
	;; [unrolled: 1-line block ×8, first 2 shown]
	v_pk_add_f32 v[12:13], v[8:9], v[2:3]
	v_pk_add_f32 v[16:17], v[30:31], v[34:35]
	;; [unrolled: 1-line block ×4, first 2 shown]
	v_mov_b32_e32 v9, v5
	v_mov_b32_e32 v3, v7
	;; [unrolled: 1-line block ×8, first 2 shown]
	v_pk_add_f32 v[2:3], v[8:9], v[2:3] neg_lo:[0,1] neg_hi:[0,1]
	v_pk_add_f32 v[4:5], v[30:31], v[34:35] neg_lo:[0,1] neg_hi:[0,1]
	;; [unrolled: 1-line block ×4, first 2 shown]
	v_pk_add_f32 v[42:43], v[12:13], v[16:17]
	v_pk_add_f32 v[44:45], v[32:33], v[40:41]
	;; [unrolled: 1-line block ×3, first 2 shown]
	v_pk_add_f32 v[2:3], v[2:3], v[4:5] neg_lo:[0,1] neg_hi:[0,1]
	v_pk_add_f32 v[4:5], v[6:7], v[8:9] neg_lo:[0,1] neg_hi:[0,1]
	v_pk_add_f32 v[46:47], v[42:43], v[44:45]
	v_pk_add_f32 v[14:15], v[6:7], v[8:9]
	;; [unrolled: 1-line block ×3, first 2 shown]
	v_pk_add_f32 v[2:3], v[2:3], v[4:5] neg_lo:[0,1] neg_hi:[0,1]
	v_and_b32_e32 v4, 1, v0
	v_sub_f32_dpp v5, v46, v46 quad_perm:[1,0,3,2] row_mask:0xf bank_mask:0xf bound_ctrl:1
	v_add_f32_dpp v8, v46, v46 quad_perm:[1,0,3,2] row_mask:0xf bank_mask:0xf bound_ctrl:1
	v_cmp_eq_u32_e32 vcc, 0, v4
	v_pk_add_f32 v[18:19], v[10:11], v[14:15]
	v_cndmask_b32_e32 v4, v5, v8, vcc
	v_sub_f32_dpp v5, v47, v47 quad_perm:[1,0,3,2] row_mask:0xf bank_mask:0xf bound_ctrl:1
	v_add_f32_dpp v8, v47, v47 quad_perm:[1,0,3,2] row_mask:0xf bank_mask:0xf bound_ctrl:1
	v_pk_add_f32 v[10:11], v[10:11], v[14:15] neg_lo:[0,1] neg_hi:[0,1]
	v_pk_add_f32 v[12:13], v[12:13], v[16:17] neg_lo:[0,1] neg_hi:[0,1]
	;; [unrolled: 1-line block ×3, first 2 shown]
	v_cndmask_b32_e32 v5, v5, v8, vcc
	v_sub_f32_dpp v8, v18, v18 quad_perm:[1,0,3,2] row_mask:0xf bank_mask:0xf bound_ctrl:1
	v_add_f32_dpp v9, v18, v18 quad_perm:[1,0,3,2] row_mask:0xf bank_mask:0xf bound_ctrl:1
	v_pk_add_f32 v[16:17], v[12:13], v[14:15]
	v_pk_add_f32 v[12:13], v[12:13], v[14:15] neg_lo:[0,1] neg_hi:[0,1]
	v_cndmask_b32_e32 v8, v8, v9, vcc
	v_sub_f32_dpp v9, v19, v19 quad_perm:[1,0,3,2] row_mask:0xf bank_mask:0xf bound_ctrl:1
	v_add_f32_dpp v14, v19, v19 quad_perm:[1,0,3,2] row_mask:0xf bank_mask:0xf bound_ctrl:1
	v_cndmask_b32_e32 v9, v9, v14, vcc
	v_add_f32_dpp v15, v16, v16 quad_perm:[1,0,3,2] row_mask:0xf bank_mask:0xf bound_ctrl:1
	v_sub_f32_dpp v14, v16, v16 quad_perm:[1,0,3,2] row_mask:0xf bank_mask:0xf bound_ctrl:1
	v_cndmask_b32_e32 v14, v14, v15, vcc
	v_sub_f32_dpp v15, v17, v17 quad_perm:[1,0,3,2] row_mask:0xf bank_mask:0xf bound_ctrl:1
	v_add_f32_dpp v16, v17, v17 quad_perm:[1,0,3,2] row_mask:0xf bank_mask:0xf bound_ctrl:1
	v_cndmask_b32_e32 v15, v15, v16, vcc
	v_pk_add_f32 v[42:43], v[42:43], v[44:45] neg_lo:[0,1] neg_hi:[0,1]
	v_sub_f32_dpp v16, v6, v6 quad_perm:[1,0,3,2] row_mask:0xf bank_mask:0xf bound_ctrl:1
	v_add_f32_dpp v6, v6, v6 quad_perm:[1,0,3,2] row_mask:0xf bank_mask:0xf bound_ctrl:1
	v_cndmask_b32_e32 v6, v16, v6, vcc
	v_sub_f32_dpp v16, v7, v7 quad_perm:[1,0,3,2] row_mask:0xf bank_mask:0xf bound_ctrl:1
	v_add_f32_dpp v7, v7, v7 quad_perm:[1,0,3,2] row_mask:0xf bank_mask:0xf bound_ctrl:1
	v_cndmask_b32_e32 v7, v16, v7, vcc
	;; [unrolled: 3-line block ×3, first 2 shown]
	v_add_f32_dpp v18, v43, v43 quad_perm:[1,0,3,2] row_mask:0xf bank_mask:0xf bound_ctrl:1
	v_sub_f32_dpp v17, v43, v43 quad_perm:[1,0,3,2] row_mask:0xf bank_mask:0xf bound_ctrl:1
	v_cndmask_b32_e32 v17, v17, v18, vcc
	v_sub_f32_dpp v18, v10, v10 quad_perm:[1,0,3,2] row_mask:0xf bank_mask:0xf bound_ctrl:1
	v_add_f32_dpp v10, v10, v10 quad_perm:[1,0,3,2] row_mask:0xf bank_mask:0xf bound_ctrl:1
	v_cndmask_b32_e32 v10, v18, v10, vcc
	v_sub_f32_dpp v18, v11, v11 quad_perm:[1,0,3,2] row_mask:0xf bank_mask:0xf bound_ctrl:1
	v_add_f32_dpp v11, v11, v11 quad_perm:[1,0,3,2] row_mask:0xf bank_mask:0xf bound_ctrl:1
	;; [unrolled: 3-line block ×6, first 2 shown]
	v_cndmask_b32_e32 v3, v18, v3, vcc
	v_and_b32_e32 v18, 2, v0
	v_cmp_eq_u32_e32 vcc, 0, v18
	v_sub_f32_dpp v19, v4, v4 quad_perm:[2,3,0,1] row_mask:0xf bank_mask:0xf bound_ctrl:1
	v_sub_f32_dpp v18, v5, v5 quad_perm:[2,3,0,1] row_mask:0xf bank_mask:0xf bound_ctrl:1
	v_add_f32_dpp v5, v5, v5 quad_perm:[2,3,0,1] row_mask:0xf bank_mask:0xf bound_ctrl:1
	v_cndmask_b32_e32 v5, v18, v5, vcc
	v_sub_f32_dpp v18, v8, v8 quad_perm:[2,3,0,1] row_mask:0xf bank_mask:0xf bound_ctrl:1
	v_add_f32_dpp v8, v8, v8 quad_perm:[2,3,0,1] row_mask:0xf bank_mask:0xf bound_ctrl:1
	v_cndmask_b32_e32 v8, v18, v8, vcc
	;; [unrolled: 3-line block ×12, first 2 shown]
	v_sub_f32_dpp v18, v13, v13 quad_perm:[2,3,0,1] row_mask:0xf bank_mask:0xf bound_ctrl:1
	v_add_f32_dpp v13, v13, v13 quad_perm:[2,3,0,1] row_mask:0xf bank_mask:0xf bound_ctrl:1
	v_add_f32_dpp v4, v4, v4 quad_perm:[2,3,0,1] row_mask:0xf bank_mask:0xf bound_ctrl:1
	v_cndmask_b32_e32 v13, v18, v13, vcc
	v_sub_f32_dpp v18, v2, v2 quad_perm:[2,3,0,1] row_mask:0xf bank_mask:0xf bound_ctrl:1
	v_add_f32_dpp v2, v2, v2 quad_perm:[2,3,0,1] row_mask:0xf bank_mask:0xf bound_ctrl:1
	v_cndmask_b32_e32 v4, v19, v4, vcc
	v_cndmask_b32_e32 v2, v18, v2, vcc
	v_sub_f32_dpp v18, v3, v3 quad_perm:[2,3,0,1] row_mask:0xf bank_mask:0xf bound_ctrl:1
	v_add_f32_dpp v3, v3, v3 quad_perm:[2,3,0,1] row_mask:0xf bank_mask:0xf bound_ctrl:1
	v_cndmask_b32_e32 v3, v18, v3, vcc
	v_mov_b32_dpp v18, v4 row_shl:4 row_mask:0xf bank_mask:0x5 bound_ctrl:1
	v_and_b32_e32 v19, 4, v0
	v_cmp_eq_u32_e32 vcc, 0, v19
	v_mov_b32_dpp v18, v4 row_shr:4 row_mask:0xf bank_mask:0xa bound_ctrl:1
	v_sub_f32_e32 v20, v18, v4
	v_add_f32_e32 v4, v4, v18
	v_mov_b32_dpp v18, v5 row_shl:4 row_mask:0xf bank_mask:0x5 bound_ctrl:1
	v_cndmask_b32_e32 v4, v20, v4, vcc
	v_and_b32_e32 v0, 8, v0
	v_mov_b32_dpp v18, v5 row_shr:4 row_mask:0xf bank_mask:0xa bound_ctrl:1
	v_sub_f32_e32 v19, v18, v5
	v_add_f32_e32 v5, v5, v18
	v_mov_b32_dpp v18, v8 row_shl:4 row_mask:0xf bank_mask:0x5 bound_ctrl:1
	v_cndmask_b32_e32 v5, v19, v5, vcc
	s_add_u32 s0, s0, s6
	v_mov_b32_dpp v18, v8 row_shr:4 row_mask:0xf bank_mask:0xa bound_ctrl:1
	v_sub_f32_e32 v19, v18, v8
	v_add_f32_e32 v8, v8, v18
	v_mov_b32_dpp v18, v9 row_shl:4 row_mask:0xf bank_mask:0x5 bound_ctrl:1
	v_cndmask_b32_e32 v8, v19, v8, vcc
	s_mov_b32 s4, 0x3d800000
	v_mov_b32_dpp v18, v9 row_shr:4 row_mask:0xf bank_mask:0xa bound_ctrl:1
	v_sub_f32_e32 v19, v18, v9
	v_add_f32_e32 v9, v9, v18
	v_mov_b32_dpp v18, v14 row_shl:4 row_mask:0xf bank_mask:0x5 bound_ctrl:1
	v_cndmask_b32_e32 v9, v19, v9, vcc
	s_addc_u32 s1, s1, s7
	v_mov_b32_dpp v18, v14 row_shr:4 row_mask:0xf bank_mask:0xa bound_ctrl:1
	v_sub_f32_e32 v19, v18, v14
	v_add_f32_e32 v14, v14, v18
	v_mov_b32_dpp v18, v15 row_shl:4 row_mask:0xf bank_mask:0x5 bound_ctrl:1
	v_cndmask_b32_e32 v14, v19, v14, vcc
	s_lshl_b32 s2, s12, 9
	v_mov_b32_dpp v18, v15 row_shr:4 row_mask:0xf bank_mask:0xa bound_ctrl:1
	v_sub_f32_e32 v19, v18, v15
	v_add_f32_e32 v15, v15, v18
	v_mov_b32_dpp v18, v6 row_shl:4 row_mask:0xf bank_mask:0x5 bound_ctrl:1
	v_cndmask_b32_e32 v15, v19, v15, vcc
	s_and_b32 s1, s1, 0xffff
	v_mov_b32_dpp v18, v6 row_shr:4 row_mask:0xf bank_mask:0xa bound_ctrl:1
	v_sub_f32_e32 v19, v18, v6
	v_add_f32_e32 v6, v6, v18
	v_cndmask_b32_e32 v18, v19, v6, vcc
	s_mov_b32 s3, 0x20000
	v_mov_b32_dpp v6, v7 row_shl:4 row_mask:0xf bank_mask:0x5 bound_ctrl:1
	s_nop 1
	v_mov_b32_dpp v6, v7 row_shr:4 row_mask:0xf bank_mask:0xa bound_ctrl:1
	v_sub_f32_e32 v19, v6, v7
	v_add_f32_e32 v6, v7, v6
	v_cndmask_b32_e32 v19, v19, v6, vcc
	s_nop 0
	v_mov_b32_dpp v6, v16 row_shl:4 row_mask:0xf bank_mask:0x5 bound_ctrl:1
	s_nop 1
	v_mov_b32_dpp v6, v16 row_shr:4 row_mask:0xf bank_mask:0xa bound_ctrl:1
	v_sub_f32_e32 v7, v6, v16
	v_add_f32_e32 v6, v16, v6
	v_cndmask_b32_e32 v16, v7, v6, vcc
	s_nop 0
	;; [unrolled: 7-line block ×3, first 2 shown]
	v_mov_b32_dpp v6, v10 row_shl:4 row_mask:0xf bank_mask:0x5 bound_ctrl:1
	s_nop 1
	v_mov_b32_dpp v6, v10 row_shr:4 row_mask:0xf bank_mask:0xa bound_ctrl:1
	v_sub_f32_e32 v7, v6, v10
	v_add_f32_e32 v6, v10, v6
	v_cndmask_b32_e32 v20, v7, v6, vcc
	v_add_f32_dpp v10, v16, v16 row_ror:8 row_mask:0xf bank_mask:0xf bound_ctrl:1
	v_mov_b32_dpp v6, v11 row_shl:4 row_mask:0xf bank_mask:0x5 bound_ctrl:1
	s_nop 1
	v_mov_b32_dpp v6, v11 row_shr:4 row_mask:0xf bank_mask:0xa bound_ctrl:1
	v_sub_f32_e32 v7, v6, v11
	v_add_f32_e32 v6, v11, v6
	v_cndmask_b32_e32 v21, v7, v6, vcc
	v_add_f32_dpp v11, v17, v17 row_ror:8 row_mask:0xf bank_mask:0xf bound_ctrl:1
	v_mov_b32_dpp v6, v12 row_shl:4 row_mask:0xf bank_mask:0x5 bound_ctrl:1
	s_nop 1
	v_mov_b32_dpp v6, v12 row_shr:4 row_mask:0xf bank_mask:0xa bound_ctrl:1
	v_sub_f32_e32 v7, v6, v12
	v_add_f32_e32 v6, v12, v6
	v_cndmask_b32_e32 v22, v7, v6, vcc
	v_add_f32_dpp v12, v20, v20 row_ror:8 row_mask:0xf bank_mask:0xf bound_ctrl:1
	v_mov_b32_dpp v6, v13 row_shl:4 row_mask:0xf bank_mask:0x5 bound_ctrl:1
	s_nop 1
	v_mov_b32_dpp v6, v13 row_shr:4 row_mask:0xf bank_mask:0xa bound_ctrl:1
	v_sub_f32_e32 v7, v6, v13
	v_add_f32_e32 v6, v13, v6
	v_cndmask_b32_e32 v23, v7, v6, vcc
	v_add_f32_dpp v13, v21, v21 row_ror:8 row_mask:0xf bank_mask:0xf bound_ctrl:1
	v_mov_b32_dpp v6, v2 row_shl:4 row_mask:0xf bank_mask:0x5 bound_ctrl:1
	s_nop 1
	v_mov_b32_dpp v6, v2 row_shr:4 row_mask:0xf bank_mask:0xa bound_ctrl:1
	v_sub_f32_e32 v7, v6, v2
	v_add_f32_e32 v2, v2, v6
	v_cndmask_b32_e32 v24, v7, v2, vcc
	v_add_f32_dpp v7, v15, v15 row_ror:8 row_mask:0xf bank_mask:0xf bound_ctrl:1
	v_mov_b32_dpp v2, v3 row_shl:4 row_mask:0xf bank_mask:0x5 bound_ctrl:1
	s_nop 1
	v_mov_b32_dpp v2, v3 row_shr:4 row_mask:0xf bank_mask:0xa bound_ctrl:1
	v_sub_f32_e32 v6, v2, v3
	v_add_f32_e32 v2, v3, v2
	v_cndmask_b32_e32 v25, v6, v2, vcc
	v_add_f32_dpp v3, v4, v4 row_ror:8 row_mask:0xf bank_mask:0xf bound_ctrl:1
	v_sub_f32_dpp v2, v4, v4 row_ror:8 row_mask:0xf bank_mask:0xf bound_ctrl:1
	v_cmp_eq_u32_e32 vcc, 0, v0
	v_cndmask_b32_e32 v2, v2, v3, vcc
	v_sub_f32_dpp v0, v5, v5 row_ror:8 row_mask:0xf bank_mask:0xf bound_ctrl:1
	v_add_f32_dpp v3, v5, v5 row_ror:8 row_mask:0xf bank_mask:0xf bound_ctrl:1
	v_cndmask_b32_e32 v3, v0, v3, vcc
	v_sub_f32_dpp v0, v8, v8 row_ror:8 row_mask:0xf bank_mask:0xf bound_ctrl:1
	v_add_f32_dpp v4, v8, v8 row_ror:8 row_mask:0xf bank_mask:0xf bound_ctrl:1
	;; [unrolled: 3-line block ×4, first 2 shown]
	v_cndmask_b32_e32 v6, v0, v6, vcc
	v_sub_f32_dpp v0, v15, v15 row_ror:8 row_mask:0xf bank_mask:0xf bound_ctrl:1
	v_cndmask_b32_e32 v7, v0, v7, vcc
	v_add_f32_dpp v8, v18, v18 row_ror:8 row_mask:0xf bank_mask:0xf bound_ctrl:1
	v_sub_f32_dpp v0, v18, v18 row_ror:8 row_mask:0xf bank_mask:0xf bound_ctrl:1
	v_cndmask_b32_e32 v8, v0, v8, vcc
	v_add_f32_dpp v9, v19, v19 row_ror:8 row_mask:0xf bank_mask:0xf bound_ctrl:1
	;; [unrolled: 3-line block ×6, first 2 shown]
	v_sub_f32_dpp v0, v21, v21 row_ror:8 row_mask:0xf bank_mask:0xf bound_ctrl:1
	v_cndmask_b32_e32 v13, v0, v13, vcc
	v_pk_mul_f32 v[18:19], v[2:3], s[4:5] op_sel_hi:[1,0]
	v_sub_f32_dpp v0, v22, v22 row_ror:8 row_mask:0xf bank_mask:0xf bound_ctrl:1
	v_cndmask_b32_e32 v14, v0, v14, vcc
	v_pk_mul_f32 v[2:3], v[4:5], s[4:5] op_sel_hi:[1,0]
	;; [unrolled: 3-line block ×4, first 2 shown]
	v_sub_f32_dpp v0, v25, v25 row_ror:8 row_mask:0xf bank_mask:0xf bound_ctrl:1
	s_mov_b32 s5, 0x7060302
	v_cndmask_b32_e32 v17, v0, v17, vcc
	v_perm_b32 v5, v5, v4, s5
	v_perm_b32 v4, v7, v6, s5
	v_perm_b32 v3, v3, v2, s5
	v_perm_b32 v2, v19, v18, s5
	buffer_store_dwordx4 v[2:5], v1, s[0:3], 0 offen
	v_pk_mul_f32 v[6:7], v[10:11], s[4:5] op_sel_hi:[1,0]
	v_pk_mul_f32 v[2:3], v[12:13], s[4:5] op_sel_hi:[1,0]
	;; [unrolled: 1-line block ×4, first 2 shown]
	v_perm_b32 v5, v5, v4, s5
	v_perm_b32 v4, v9, v8, s5
	v_perm_b32 v3, v3, v2, s5
	v_perm_b32 v2, v7, v6, s5
	;;#ASMSTART
	s_nop 0
	;;#ASMEND
	buffer_store_dwordx4 v[2:5], v1, s[0:3], 16 offen
	;;#ASMSTART
	s_nop 0
	;;#ASMEND
	s_endpgm
	.section	.rodata,"a",@progbits
	.p2align	6, 0x0
	.amdhsa_kernel _ZN5aiter55rope_hadamard_rotate_activation_fp4quant_inplace_kernelItLi256ELb0ELi16EEEvPT_PKS1_S4_S4_PKliiiii
		.amdhsa_group_segment_fixed_size 0
		.amdhsa_private_segment_fixed_size 0
		.amdhsa_kernarg_size 60
		.amdhsa_user_sgpr_count 6
		.amdhsa_user_sgpr_private_segment_buffer 1
		.amdhsa_user_sgpr_dispatch_ptr 0
		.amdhsa_user_sgpr_queue_ptr 0
		.amdhsa_user_sgpr_kernarg_segment_ptr 1
		.amdhsa_user_sgpr_dispatch_id 0
		.amdhsa_user_sgpr_flat_scratch_init 0
		.amdhsa_user_sgpr_kernarg_preload_length 0
		.amdhsa_user_sgpr_kernarg_preload_offset 0
		.amdhsa_user_sgpr_private_segment_size 0
		.amdhsa_uses_dynamic_stack 0
		.amdhsa_system_sgpr_private_segment_wavefront_offset 0
		.amdhsa_system_sgpr_workgroup_id_x 1
		.amdhsa_system_sgpr_workgroup_id_y 0
		.amdhsa_system_sgpr_workgroup_id_z 0
		.amdhsa_system_sgpr_workgroup_info 0
		.amdhsa_system_vgpr_workitem_id 0
		.amdhsa_next_free_vgpr 60
		.amdhsa_next_free_sgpr 20
		.amdhsa_accum_offset 60
		.amdhsa_reserve_vcc 1
		.amdhsa_reserve_flat_scratch 0
		.amdhsa_float_round_mode_32 0
		.amdhsa_float_round_mode_16_64 0
		.amdhsa_float_denorm_mode_32 3
		.amdhsa_float_denorm_mode_16_64 3
		.amdhsa_dx10_clamp 1
		.amdhsa_ieee_mode 1
		.amdhsa_fp16_overflow 0
		.amdhsa_tg_split 0
		.amdhsa_exception_fp_ieee_invalid_op 0
		.amdhsa_exception_fp_denorm_src 0
		.amdhsa_exception_fp_ieee_div_zero 0
		.amdhsa_exception_fp_ieee_overflow 0
		.amdhsa_exception_fp_ieee_underflow 0
		.amdhsa_exception_fp_ieee_inexact 0
		.amdhsa_exception_int_div_zero 0
	.end_amdhsa_kernel
	.section	.text._ZN5aiter55rope_hadamard_rotate_activation_fp4quant_inplace_kernelItLi256ELb0ELi16EEEvPT_PKS1_S4_S4_PKliiiii,"axG",@progbits,_ZN5aiter55rope_hadamard_rotate_activation_fp4quant_inplace_kernelItLi256ELb0ELi16EEEvPT_PKS1_S4_S4_PKliiiii,comdat
.Lfunc_end28:
	.size	_ZN5aiter55rope_hadamard_rotate_activation_fp4quant_inplace_kernelItLi256ELb0ELi16EEEvPT_PKS1_S4_S4_PKliiiii, .Lfunc_end28-_ZN5aiter55rope_hadamard_rotate_activation_fp4quant_inplace_kernelItLi256ELb0ELi16EEEvPT_PKS1_S4_S4_PKliiiii
                                        ; -- End function
	.section	.AMDGPU.csdata,"",@progbits
; Kernel info:
; codeLenInByte = 3152
; NumSgprs: 24
; NumVgprs: 60
; NumAgprs: 0
; TotalNumVgprs: 60
; ScratchSize: 0
; MemoryBound: 0
; FloatMode: 240
; IeeeMode: 1
; LDSByteSize: 0 bytes/workgroup (compile time only)
; SGPRBlocks: 2
; VGPRBlocks: 7
; NumSGPRsForWavesPerEU: 24
; NumVGPRsForWavesPerEU: 60
; AccumOffset: 60
; Occupancy: 8
; WaveLimiterHint : 1
; COMPUTE_PGM_RSRC2:SCRATCH_EN: 0
; COMPUTE_PGM_RSRC2:USER_SGPR: 6
; COMPUTE_PGM_RSRC2:TRAP_HANDLER: 0
; COMPUTE_PGM_RSRC2:TGID_X_EN: 1
; COMPUTE_PGM_RSRC2:TGID_Y_EN: 0
; COMPUTE_PGM_RSRC2:TGID_Z_EN: 0
; COMPUTE_PGM_RSRC2:TIDIG_COMP_CNT: 0
; COMPUTE_PGM_RSRC3_GFX90A:ACCUM_OFFSET: 14
; COMPUTE_PGM_RSRC3_GFX90A:TG_SPLIT: 0
	.section	.text._ZN5aiter55rope_hadamard_rotate_activation_fp4quant_inplace_kernelIDF16_Li512ELb0ELi16EEEvPT_PKS1_S4_S4_PKliiiii,"axG",@progbits,_ZN5aiter55rope_hadamard_rotate_activation_fp4quant_inplace_kernelIDF16_Li512ELb0ELi16EEEvPT_PKS1_S4_S4_PKliiiii,comdat
	.protected	_ZN5aiter55rope_hadamard_rotate_activation_fp4quant_inplace_kernelIDF16_Li512ELb0ELi16EEEvPT_PKS1_S4_S4_PKliiiii ; -- Begin function _ZN5aiter55rope_hadamard_rotate_activation_fp4quant_inplace_kernelIDF16_Li512ELb0ELi16EEEvPT_PKS1_S4_S4_PKliiiii
	.globl	_ZN5aiter55rope_hadamard_rotate_activation_fp4quant_inplace_kernelIDF16_Li512ELb0ELi16EEEvPT_PKS1_S4_S4_PKliiiii
	.p2align	8
	.type	_ZN5aiter55rope_hadamard_rotate_activation_fp4quant_inplace_kernelIDF16_Li512ELb0ELi16EEEvPT_PKS1_S4_S4_PKliiiii,@function
_ZN5aiter55rope_hadamard_rotate_activation_fp4quant_inplace_kernelIDF16_Li512ELb0ELi16EEEvPT_PKS1_S4_S4_PKliiiii: ; @_ZN5aiter55rope_hadamard_rotate_activation_fp4quant_inplace_kernelIDF16_Li512ELb0ELi16EEEvPT_PKS1_S4_S4_PKliiiii
; %bb.0:
	s_load_dwordx4 s[8:11], s[4:5], 0x28
	s_load_dwordx4 s[0:3], s[4:5], 0x0
	s_lshl_b32 s14, s6, 1
	s_mov_b32 s19, 0x20000
	v_lshlrev_b32_e32 v1, 5, v0
	s_waitcnt lgkmcnt(0)
	s_sub_i32 s6, s8, s14
	s_min_i32 s12, s6, 2
	s_mul_hi_i32 s7, s11, s14
	s_mul_i32 s6, s11, s14
	s_sub_i32 s13, 0x200, s10
	s_lshl_b64 s[6:7], s[6:7], 1
	s_add_u32 s16, s2, s6
	s_addc_u32 s2, s3, s7
	s_mul_i32 s3, s12, s11
	s_lshl_b32 s18, s3, 1
	s_and_b32 s17, s2, 0xffff
	buffer_load_dwordx4 v[6:9], v1, s[16:19], 0 offen
	buffer_load_dwordx4 v[2:5], v1, s[16:19], 16 offen
	v_lshrrev_b32_e32 v13, 5, v0
	v_lshlrev_b32_e32 v11, 4, v0
	v_lshlrev_b32_e32 v15, 9, v13
	v_sub_u32_e32 v11, v11, v15
	v_cmp_le_i32_e32 vcc, s13, v11
	s_waitcnt vmcnt(1)
	v_cvt_f32_f16_sdwa v29, v6 dst_sel:DWORD dst_unused:UNUSED_PAD src0_sel:WORD_1
	v_cvt_f32_f16_sdwa v28, v7 dst_sel:DWORD dst_unused:UNUSED_PAD src0_sel:WORD_1
	v_cvt_f32_f16_e32 v30, v7
	v_cvt_f32_f16_sdwa v25, v8 dst_sel:DWORD dst_unused:UNUSED_PAD src0_sel:WORD_1
	v_cvt_f32_f16_e32 v27, v8
	;; [unrolled: 2-line block ×3, first 2 shown]
	s_waitcnt vmcnt(0)
	v_cvt_f32_f16_sdwa v20, v2 dst_sel:DWORD dst_unused:UNUSED_PAD src0_sel:WORD_1
	v_cvt_f32_f16_sdwa v22, v3 dst_sel:DWORD dst_unused:UNUSED_PAD src0_sel:WORD_1
	v_cvt_f32_f16_e32 v12, v3
	v_cvt_f32_f16_sdwa v14, v4 dst_sel:DWORD dst_unused:UNUSED_PAD src0_sel:WORD_1
	v_cvt_f32_f16_e32 v10, v4
	;; [unrolled: 2-line block ×3, first 2 shown]
	s_and_saveexec_b64 s[2:3], vcc
	s_xor_b64 s[2:3], exec, s[2:3]
	s_cbranch_execz .LBB29_2
; %bb.1:
	v_add_u32_e32 v10, s14, v13
	s_add_i32 s11, s8, -1
	s_load_dwordx2 s[16:17], s[4:5], 0x20
	v_mov_b32_e32 v12, s11
	v_cmp_gt_i32_e32 vcc, s8, v10
	v_cndmask_b32_e32 v10, v12, v10, vcc
	s_ff1_i32_b32 s8, s9
	v_ashrrev_i32_e32 v12, s8, v10
	v_ashrrev_i32_e32 v13, 31, v12
	v_lshlrev_b64 v[12:13], 3, v[12:13]
	s_waitcnt lgkmcnt(0)
	v_mov_b32_e32 v10, s17
	v_add_co_u32_e32 v12, vcc, s16, v12
	v_addc_co_u32_e32 v13, vcc, v10, v13, vcc
	global_load_dwordx2 v[12:13], v[12:13], off
	s_load_dwordx4 s[16:19], s[4:5], 0x10
	s_lshr_b32 s4, s10, 31
	s_add_i32 s4, s10, s4
	s_ashr_i32 s4, s4, 1
	s_ashr_i32 s5, s4, 31
	v_subrev_u32_e32 v10, s13, v11
	v_lshrrev_b32_e32 v11, 31, v10
	v_add_u32_e32 v10, v10, v11
	s_waitcnt lgkmcnt(0)
	v_mov_b32_e32 v14, s17
	v_ashrrev_i32_e32 v10, 1, v10
	v_ashrrev_i32_e32 v11, 31, v10
	v_mov_b32_e32 v15, s19
	v_lshlrev_b64 v[10:11], 1, v[10:11]
	v_cvt_f32_f16_sdwa v25, v6 dst_sel:DWORD dst_unused:UNUSED_PAD src0_sel:WORD_1
	v_cvt_f32_f16_sdwa v44, v2 dst_sel:DWORD dst_unused:UNUSED_PAD src0_sel:WORD_1
	;; [unrolled: 1-line block ×3, first 2 shown]
	v_cvt_f32_f16_e32 v32, v3
	v_cvt_f32_f16_sdwa v35, v4 dst_sel:DWORD dst_unused:UNUSED_PAD src0_sel:WORD_1
	v_cvt_f32_f16_e32 v22, v9
	v_cvt_f32_f16_sdwa v37, v5 dst_sel:DWORD dst_unused:UNUSED_PAD src0_sel:WORD_1
	v_cvt_f32_f16_e32 v34, v4
	v_cvt_f32_f16_e32 v36, v5
	v_cvt_f32_f16_sdwa v23, v9 dst_sel:DWORD dst_unused:UNUSED_PAD src0_sel:WORD_1
	v_mov_b32_e32 v4, v35
	v_mov_b32_e32 v24, v37
	s_waitcnt vmcnt(0)
	v_mul_lo_u32 v16, v13, s4
	v_mul_lo_u32 v17, v12, s5
	v_mad_u64_u32 v[12:13], s[4:5], v12, s4, 0
	v_add3_u32 v13, v13, v17, v16
	v_lshlrev_b64 v[12:13], 1, v[12:13]
	v_add_co_u32_e32 v16, vcc, s16, v12
	v_addc_co_u32_e32 v14, vcc, v14, v13, vcc
	v_add_co_u32_e32 v12, vcc, s18, v12
	v_addc_co_u32_e32 v13, vcc, v15, v13, vcc
	;; [unrolled: 2-line block ×4, first 2 shown]
	global_load_dwordx4 v[14:17], v[18:19], off
	global_load_dwordx4 v[10:13], v[20:21], off
	v_cvt_f32_f16_sdwa v19, v7 dst_sel:DWORD dst_unused:UNUSED_PAD src0_sel:WORD_1
	v_cvt_f32_f16_e32 v18, v7
	v_cvt_f32_f16_sdwa v21, v8 dst_sel:DWORD dst_unused:UNUSED_PAD src0_sel:WORD_1
	v_cvt_f32_f16_e32 v20, v8
	s_waitcnt vmcnt(1)
	v_cvt_f32_f16_e32 v29, v15
	s_waitcnt vmcnt(0)
	v_cvt_f32_f16_e32 v45, v10
	v_cvt_f32_f16_sdwa v31, v15 dst_sel:DWORD dst_unused:UNUSED_PAD src0_sel:WORD_1
	v_cvt_f32_f16_e32 v15, v16
	v_cvt_f32_f16_e32 v46, v12
	v_cvt_f32_f16_sdwa v39, v16 dst_sel:DWORD dst_unused:UNUSED_PAD src0_sel:WORD_1
	v_cvt_f32_f16_sdwa v38, v12 dst_sel:DWORD dst_unused:UNUSED_PAD src0_sel:WORD_1
	v_cvt_f32_f16_e32 v5, v14
	v_cvt_f32_f16_sdwa v27, v14 dst_sel:DWORD dst_unused:UNUSED_PAD src0_sel:WORD_1
	v_cvt_f32_f16_sdwa v26, v10 dst_sel:DWORD dst_unused:UNUSED_PAD src0_sel:WORD_1
	v_cvt_f32_f16_e32 v28, v11
	v_cvt_f32_f16_e32 v41, v17
	;; [unrolled: 1-line block ×3, first 2 shown]
	v_cvt_f32_f16_sdwa v43, v17 dst_sel:DWORD dst_unused:UNUSED_PAD src0_sel:WORD_1
	v_cvt_f32_f16_sdwa v42, v13 dst_sel:DWORD dst_unused:UNUSED_PAD src0_sel:WORD_1
	;; [unrolled: 1-line block ×3, first 2 shown]
	v_mul_f32_e32 v13, v45, v25
	v_mul_f32_e32 v53, v46, v44
	;; [unrolled: 1-line block ×3, first 2 shown]
	v_pk_mul_f32 v[44:45], v[38:39], v[32:33]
	v_mul_f32_e32 v17, v5, v25
	v_mul_f32_e32 v25, v27, v18
	v_pk_mul_f32 v[18:19], v[26:27], v[18:19]
	v_mul_f32_e32 v26, v29, v20
	v_pk_mul_f32 v[20:21], v[28:29], v[20:21]
	v_mul_f32_e32 v52, v31, v22
	v_mov_b32_e32 v44, v41
	v_pk_mul_f32 v[4:5], v[4:5], v[40:41] op_sel_hi:[0,1]
	v_pk_mul_f32 v[46:47], v[40:41], v[34:35]
	v_pk_mul_f32 v[50:51], v[42:43], v[36:37]
	v_pk_mul_f32 v[22:23], v[30:31], v[22:23]
	v_mov_b32_e32 v46, v43
	v_pk_mul_f32 v[48:49], v[24:25], v[42:43] op_sel_hi:[0,1]
	v_mul_f32_e32 v50, v39, v32
	v_fma_mix_f32 v31, v14, v6, -v13 op_sel_hi:[1,1,0]
	v_fma_mix_f32 v29, v10, v6, v17 op_sel_hi:[1,1,0]
	v_fma_mix_f32 v30, -v7, v10, v25 op_sel:[1,1,0] op_sel_hi:[1,1,0]
	v_fma_mix_f32 v27, -v8, v11, v26 op_sel:[1,0,0] op_sel_hi:[1,1,0]
	v_add_f32_e32 v25, v20, v21
	v_fma_mix_f32 v26, -v9, v11, v52 op_sel:[1,1,0] op_sel_hi:[1,1,0]
	v_fma_mix_f32 v13, v16, v2, -v53 op_sel_hi:[1,1,0]
	v_fma_mix_f32 v20, v12, v2, v15 op_sel_hi:[1,1,0]
	v_mov_b32_e32 v2, v45
	v_pk_fma_f32 v[10:11], v[44:45], v[34:35], v[4:5] op_sel_hi:[0,1,1] neg_lo:[0,0,1] neg_hi:[0,0,1]
	v_mov_b32_e32 v4, v47
	v_mov_b32_e32 v6, v51
	v_add_f32_e32 v28, v18, v19
	v_add_f32_e32 v24, v22, v23
	v_pk_fma_f32 v[16:17], v[46:47], v[36:37], v[48:49] op_sel_hi:[0,1,1] neg_lo:[0,0,1] neg_hi:[0,0,1]
	v_pk_fma_f32 v[22:23], v[38:39], v[32:33], v[2:3]
	v_pk_fma_f32 v[14:15], v[40:41], v[34:35], v[4:5]
	;; [unrolled: 1-line block ×3, first 2 shown]
	v_fma_mix_f32 v12, -v3, v12, v50 op_sel:[1,1,0] op_sel_hi:[1,1,0]
                                        ; implicit-def: $vgpr6_vgpr7_vgpr8_vgpr9
                                        ; implicit-def: $vgpr2_vgpr3_vgpr4_vgpr5
.LBB29_2:
	s_andn2_saveexec_b64 s[2:3], s[2:3]
; %bb.3:
	v_cvt_f32_f16_e32 v31, v6
	v_cvt_f32_f16_e32 v13, v2
; %bb.4:
	s_or_b64 exec, exec, s[2:3]
	v_mov_b32_e32 v6, v29
	v_mov_b32_e32 v7, v30
	;; [unrolled: 1-line block ×4, first 2 shown]
	v_pk_add_f32 v[2:3], v[30:31], v[28:29]
	v_pk_add_f32 v[4:5], v[30:31], v[28:29] neg_lo:[0,1] neg_hi:[0,1]
	v_pk_add_f32 v[28:29], v[6:7], v[8:9]
	v_pk_add_f32 v[6:7], v[6:7], v[8:9] neg_lo:[0,1] neg_hi:[0,1]
	;; [unrolled: 2-line block ×3, first 2 shown]
	v_mov_b32_e32 v32, v25
	v_mov_b32_e32 v33, v26
	;; [unrolled: 1-line block ×5, first 2 shown]
	v_pk_add_f32 v[24:25], v[32:33], v[26:27]
	v_pk_add_f32 v[26:27], v[32:33], v[26:27] neg_lo:[0,1] neg_hi:[0,1]
	v_pk_add_f32 v[32:33], v[12:13], v[22:23]
	v_pk_add_f32 v[34:35], v[12:13], v[22:23] neg_lo:[0,1] neg_hi:[0,1]
	v_mov_b32_e32 v21, v12
	v_mov_b32_e32 v12, v13
	;; [unrolled: 1-line block ×7, first 2 shown]
	v_pk_add_f32 v[22:23], v[20:21], v[12:13]
	v_pk_add_f32 v[12:13], v[20:21], v[12:13] neg_lo:[0,1] neg_hi:[0,1]
	v_pk_add_f32 v[20:21], v[16:17], v[18:19]
	v_pk_add_f32 v[36:37], v[16:17], v[18:19] neg_lo:[0,1] neg_hi:[0,1]
	;; [unrolled: 2-line block ×3, first 2 shown]
	v_mov_b32_e32 v3, v5
	v_mov_b32_e32 v29, v7
	;; [unrolled: 1-line block ×8, first 2 shown]
	v_pk_add_f32 v[14:15], v[28:29], v[2:3]
	v_pk_add_f32 v[18:19], v[24:25], v[8:9]
	;; [unrolled: 1-line block ×4, first 2 shown]
	v_mov_b32_e32 v29, v5
	v_mov_b32_e32 v3, v7
	;; [unrolled: 1-line block ×8, first 2 shown]
	v_pk_add_f32 v[2:3], v[28:29], v[2:3] neg_lo:[0,1] neg_hi:[0,1]
	v_pk_add_f32 v[4:5], v[24:25], v[8:9] neg_lo:[0,1] neg_hi:[0,1]
	v_pk_add_f32 v[6:7], v[22:23], v[32:33] neg_lo:[0,1] neg_hi:[0,1]
	v_pk_add_f32 v[8:9], v[16:17], v[20:21] neg_lo:[0,1] neg_hi:[0,1]
	v_pk_add_f32 v[42:43], v[14:15], v[18:19]
	v_pk_add_f32 v[44:45], v[38:39], v[40:41]
	;; [unrolled: 1-line block ×3, first 2 shown]
	v_pk_add_f32 v[2:3], v[2:3], v[4:5] neg_lo:[0,1] neg_hi:[0,1]
	v_pk_add_f32 v[4:5], v[6:7], v[8:9] neg_lo:[0,1] neg_hi:[0,1]
	v_pk_add_f32 v[46:47], v[42:43], v[44:45]
	v_pk_add_f32 v[12:13], v[6:7], v[8:9]
	;; [unrolled: 1-line block ×3, first 2 shown]
	v_pk_add_f32 v[2:3], v[2:3], v[4:5] neg_lo:[0,1] neg_hi:[0,1]
	v_and_b32_e32 v4, 1, v0
	v_sub_f32_dpp v5, v46, v46 quad_perm:[1,0,3,2] row_mask:0xf bank_mask:0xf bound_ctrl:1
	v_add_f32_dpp v8, v46, v46 quad_perm:[1,0,3,2] row_mask:0xf bank_mask:0xf bound_ctrl:1
	v_cmp_eq_u32_e32 vcc, 0, v4
	v_pk_add_f32 v[16:17], v[10:11], v[12:13]
	v_cndmask_b32_e32 v4, v5, v8, vcc
	v_sub_f32_dpp v5, v47, v47 quad_perm:[1,0,3,2] row_mask:0xf bank_mask:0xf bound_ctrl:1
	v_add_f32_dpp v8, v47, v47 quad_perm:[1,0,3,2] row_mask:0xf bank_mask:0xf bound_ctrl:1
	v_pk_add_f32 v[10:11], v[10:11], v[12:13] neg_lo:[0,1] neg_hi:[0,1]
	v_pk_add_f32 v[12:13], v[14:15], v[18:19] neg_lo:[0,1] neg_hi:[0,1]
	;; [unrolled: 1-line block ×3, first 2 shown]
	v_cndmask_b32_e32 v5, v5, v8, vcc
	v_sub_f32_dpp v8, v16, v16 quad_perm:[1,0,3,2] row_mask:0xf bank_mask:0xf bound_ctrl:1
	v_add_f32_dpp v9, v16, v16 quad_perm:[1,0,3,2] row_mask:0xf bank_mask:0xf bound_ctrl:1
	v_pk_add_f32 v[18:19], v[12:13], v[14:15]
	v_pk_add_f32 v[12:13], v[12:13], v[14:15] neg_lo:[0,1] neg_hi:[0,1]
	v_cndmask_b32_e32 v8, v8, v9, vcc
	v_sub_f32_dpp v9, v17, v17 quad_perm:[1,0,3,2] row_mask:0xf bank_mask:0xf bound_ctrl:1
	v_add_f32_dpp v14, v17, v17 quad_perm:[1,0,3,2] row_mask:0xf bank_mask:0xf bound_ctrl:1
	v_cndmask_b32_e32 v9, v9, v14, vcc
	v_add_f32_dpp v15, v18, v18 quad_perm:[1,0,3,2] row_mask:0xf bank_mask:0xf bound_ctrl:1
	v_sub_f32_dpp v14, v18, v18 quad_perm:[1,0,3,2] row_mask:0xf bank_mask:0xf bound_ctrl:1
	v_cndmask_b32_e32 v14, v14, v15, vcc
	v_sub_f32_dpp v15, v19, v19 quad_perm:[1,0,3,2] row_mask:0xf bank_mask:0xf bound_ctrl:1
	v_add_f32_dpp v16, v19, v19 quad_perm:[1,0,3,2] row_mask:0xf bank_mask:0xf bound_ctrl:1
	v_cndmask_b32_e32 v15, v15, v16, vcc
	v_pk_add_f32 v[42:43], v[42:43], v[44:45] neg_lo:[0,1] neg_hi:[0,1]
	v_sub_f32_dpp v16, v6, v6 quad_perm:[1,0,3,2] row_mask:0xf bank_mask:0xf bound_ctrl:1
	v_add_f32_dpp v6, v6, v6 quad_perm:[1,0,3,2] row_mask:0xf bank_mask:0xf bound_ctrl:1
	v_cndmask_b32_e32 v6, v16, v6, vcc
	v_sub_f32_dpp v16, v7, v7 quad_perm:[1,0,3,2] row_mask:0xf bank_mask:0xf bound_ctrl:1
	v_add_f32_dpp v7, v7, v7 quad_perm:[1,0,3,2] row_mask:0xf bank_mask:0xf bound_ctrl:1
	v_cndmask_b32_e32 v7, v16, v7, vcc
	;; [unrolled: 3-line block ×3, first 2 shown]
	v_add_f32_dpp v18, v43, v43 quad_perm:[1,0,3,2] row_mask:0xf bank_mask:0xf bound_ctrl:1
	v_sub_f32_dpp v17, v43, v43 quad_perm:[1,0,3,2] row_mask:0xf bank_mask:0xf bound_ctrl:1
	v_cndmask_b32_e32 v17, v17, v18, vcc
	v_sub_f32_dpp v18, v10, v10 quad_perm:[1,0,3,2] row_mask:0xf bank_mask:0xf bound_ctrl:1
	v_add_f32_dpp v10, v10, v10 quad_perm:[1,0,3,2] row_mask:0xf bank_mask:0xf bound_ctrl:1
	v_cndmask_b32_e32 v10, v18, v10, vcc
	v_sub_f32_dpp v18, v11, v11 quad_perm:[1,0,3,2] row_mask:0xf bank_mask:0xf bound_ctrl:1
	v_add_f32_dpp v11, v11, v11 quad_perm:[1,0,3,2] row_mask:0xf bank_mask:0xf bound_ctrl:1
	;; [unrolled: 3-line block ×6, first 2 shown]
	v_cndmask_b32_e32 v3, v18, v3, vcc
	v_and_b32_e32 v18, 2, v0
	v_cmp_eq_u32_e32 vcc, 0, v18
	v_sub_f32_dpp v19, v4, v4 quad_perm:[2,3,0,1] row_mask:0xf bank_mask:0xf bound_ctrl:1
	v_sub_f32_dpp v18, v5, v5 quad_perm:[2,3,0,1] row_mask:0xf bank_mask:0xf bound_ctrl:1
	v_add_f32_dpp v5, v5, v5 quad_perm:[2,3,0,1] row_mask:0xf bank_mask:0xf bound_ctrl:1
	v_cndmask_b32_e32 v5, v18, v5, vcc
	v_sub_f32_dpp v18, v8, v8 quad_perm:[2,3,0,1] row_mask:0xf bank_mask:0xf bound_ctrl:1
	v_add_f32_dpp v8, v8, v8 quad_perm:[2,3,0,1] row_mask:0xf bank_mask:0xf bound_ctrl:1
	v_cndmask_b32_e32 v8, v18, v8, vcc
	;; [unrolled: 3-line block ×12, first 2 shown]
	v_sub_f32_dpp v18, v13, v13 quad_perm:[2,3,0,1] row_mask:0xf bank_mask:0xf bound_ctrl:1
	v_add_f32_dpp v13, v13, v13 quad_perm:[2,3,0,1] row_mask:0xf bank_mask:0xf bound_ctrl:1
	v_add_f32_dpp v4, v4, v4 quad_perm:[2,3,0,1] row_mask:0xf bank_mask:0xf bound_ctrl:1
	v_cndmask_b32_e32 v13, v18, v13, vcc
	v_sub_f32_dpp v18, v2, v2 quad_perm:[2,3,0,1] row_mask:0xf bank_mask:0xf bound_ctrl:1
	v_add_f32_dpp v2, v2, v2 quad_perm:[2,3,0,1] row_mask:0xf bank_mask:0xf bound_ctrl:1
	v_cndmask_b32_e32 v4, v19, v4, vcc
	v_cndmask_b32_e32 v2, v18, v2, vcc
	v_sub_f32_dpp v18, v3, v3 quad_perm:[2,3,0,1] row_mask:0xf bank_mask:0xf bound_ctrl:1
	v_add_f32_dpp v3, v3, v3 quad_perm:[2,3,0,1] row_mask:0xf bank_mask:0xf bound_ctrl:1
	v_cndmask_b32_e32 v3, v18, v3, vcc
	v_mov_b32_dpp v18, v4 row_shl:4 row_mask:0xf bank_mask:0x5 bound_ctrl:1
	v_and_b32_e32 v19, 4, v0
	v_cmp_eq_u32_e32 vcc, 0, v19
	v_mov_b32_dpp v18, v4 row_shr:4 row_mask:0xf bank_mask:0xa bound_ctrl:1
	v_sub_f32_e32 v20, v18, v4
	v_add_f32_e32 v4, v4, v18
	v_mov_b32_dpp v18, v5 row_shl:4 row_mask:0xf bank_mask:0x5 bound_ctrl:1
	v_cndmask_b32_e32 v4, v20, v4, vcc
	s_mov_b32 s4, 0x3d3504f3
	v_mov_b32_dpp v18, v5 row_shr:4 row_mask:0xf bank_mask:0xa bound_ctrl:1
	v_sub_f32_e32 v19, v18, v5
	v_add_f32_e32 v5, v5, v18
	v_mov_b32_dpp v18, v8 row_shl:4 row_mask:0xf bank_mask:0x5 bound_ctrl:1
	v_cndmask_b32_e32 v5, v19, v5, vcc
	s_add_u32 s0, s0, s6
	v_mov_b32_dpp v18, v8 row_shr:4 row_mask:0xf bank_mask:0xa bound_ctrl:1
	v_sub_f32_e32 v19, v18, v8
	v_add_f32_e32 v8, v8, v18
	v_mov_b32_dpp v18, v9 row_shl:4 row_mask:0xf bank_mask:0x5 bound_ctrl:1
	v_cndmask_b32_e32 v8, v19, v8, vcc
	s_addc_u32 s1, s1, s7
	v_mov_b32_dpp v18, v9 row_shr:4 row_mask:0xf bank_mask:0xa bound_ctrl:1
	v_sub_f32_e32 v19, v18, v9
	v_add_f32_e32 v9, v9, v18
	v_mov_b32_dpp v18, v14 row_shl:4 row_mask:0xf bank_mask:0x5 bound_ctrl:1
	v_cndmask_b32_e32 v9, v19, v9, vcc
	s_lshl_b32 s2, s12, 10
	v_mov_b32_dpp v18, v14 row_shr:4 row_mask:0xf bank_mask:0xa bound_ctrl:1
	v_sub_f32_e32 v19, v18, v14
	v_add_f32_e32 v14, v14, v18
	v_mov_b32_dpp v18, v15 row_shl:4 row_mask:0xf bank_mask:0x5 bound_ctrl:1
	v_cndmask_b32_e32 v14, v19, v14, vcc
	s_and_b32 s1, s1, 0xffff
	v_mov_b32_dpp v18, v15 row_shr:4 row_mask:0xf bank_mask:0xa bound_ctrl:1
	v_sub_f32_e32 v19, v18, v15
	v_add_f32_e32 v15, v15, v18
	v_mov_b32_dpp v18, v6 row_shl:4 row_mask:0xf bank_mask:0x5 bound_ctrl:1
	v_cndmask_b32_e32 v15, v19, v15, vcc
	s_mov_b32 s3, 0x20000
	v_mov_b32_dpp v18, v6 row_shr:4 row_mask:0xf bank_mask:0xa bound_ctrl:1
	v_sub_f32_e32 v19, v18, v6
	v_add_f32_e32 v6, v6, v18
	v_mov_b32_dpp v18, v7 row_shl:4 row_mask:0xf bank_mask:0x5 bound_ctrl:1
	v_cndmask_b32_e32 v6, v19, v6, vcc
	s_nop 0
	v_mov_b32_dpp v18, v7 row_shr:4 row_mask:0xf bank_mask:0xa bound_ctrl:1
	v_sub_f32_e32 v19, v18, v7
	v_add_f32_e32 v7, v7, v18
	v_mov_b32_dpp v18, v16 row_shl:4 row_mask:0xf bank_mask:0x5 bound_ctrl:1
	v_cndmask_b32_e32 v7, v19, v7, vcc
	s_nop 0
	;; [unrolled: 6-line block ×9, first 2 shown]
	v_mov_b32_dpp v18, v3 row_shr:4 row_mask:0xf bank_mask:0xa bound_ctrl:1
	v_sub_f32_e32 v19, v18, v3
	v_add_f32_e32 v3, v3, v18
	v_and_b32_e32 v18, 8, v0
	v_cndmask_b32_e32 v3, v19, v3, vcc
	v_cmp_eq_u32_e32 vcc, 0, v18
	v_sub_f32_dpp v18, v5, v5 row_ror:8 row_mask:0xf bank_mask:0xf bound_ctrl:1
	v_add_f32_dpp v5, v5, v5 row_ror:8 row_mask:0xf bank_mask:0xf bound_ctrl:1
	v_cndmask_b32_e32 v5, v18, v5, vcc
	v_sub_f32_dpp v18, v8, v8 row_ror:8 row_mask:0xf bank_mask:0xf bound_ctrl:1
	v_add_f32_dpp v8, v8, v8 row_ror:8 row_mask:0xf bank_mask:0xf bound_ctrl:1
	v_cndmask_b32_e32 v8, v18, v8, vcc
	;; [unrolled: 3-line block ×5, first 2 shown]
	v_sub_f32_dpp v18, v6, v6 row_ror:8 row_mask:0xf bank_mask:0xf bound_ctrl:1
	v_add_f32_dpp v6, v6, v6 row_ror:8 row_mask:0xf bank_mask:0xf bound_ctrl:1
	v_sub_f32_dpp v19, v4, v4 row_ror:8 row_mask:0xf bank_mask:0xf bound_ctrl:1
	v_add_f32_dpp v4, v4, v4 row_ror:8 row_mask:0xf bank_mask:0xf bound_ctrl:1
	v_cndmask_b32_e32 v18, v18, v6, vcc
	v_sub_f32_dpp v6, v7, v7 row_ror:8 row_mask:0xf bank_mask:0xf bound_ctrl:1
	v_add_f32_dpp v7, v7, v7 row_ror:8 row_mask:0xf bank_mask:0xf bound_ctrl:1
	v_cndmask_b32_e32 v4, v19, v4, vcc
	v_cndmask_b32_e32 v19, v6, v7, vcc
	v_sub_f32_dpp v6, v16, v16 row_ror:8 row_mask:0xf bank_mask:0xf bound_ctrl:1
	v_add_f32_dpp v7, v16, v16 row_ror:8 row_mask:0xf bank_mask:0xf bound_ctrl:1
	v_cndmask_b32_e32 v16, v6, v7, vcc
	v_sub_f32_dpp v6, v17, v17 row_ror:8 row_mask:0xf bank_mask:0xf bound_ctrl:1
	v_add_f32_dpp v7, v17, v17 row_ror:8 row_mask:0xf bank_mask:0xf bound_ctrl:1
	;; [unrolled: 3-line block ×7, first 2 shown]
	v_cndmask_b32_e32 v20, v6, v2, vcc
	v_mbcnt_lo_u32_b32 v2, -1, 0
	v_mbcnt_hi_u32_b32 v2, -1, v2
	v_lshlrev_b32_e32 v2, 2, v2
	v_xor_b32_e32 v21, 64, v2
	ds_bpermute_b32 v2, v21, v4
	v_sub_f32_dpp v6, v3, v3 row_ror:8 row_mask:0xf bank_mask:0xf bound_ctrl:1
	v_add_f32_dpp v3, v3, v3 row_ror:8 row_mask:0xf bank_mask:0xf bound_ctrl:1
	v_cndmask_b32_e32 v22, v6, v3, vcc
	ds_bpermute_b32 v6, v21, v5
	v_and_b32_e32 v0, 16, v0
	s_waitcnt lgkmcnt(1)
	v_sub_f32_e32 v3, v2, v4
	v_add_f32_e32 v2, v4, v2
	v_cmp_eq_u32_e32 vcc, 0, v0
	v_cndmask_b32_e32 v0, v3, v2, vcc
	ds_bpermute_b32 v3, v21, v8
	s_waitcnt lgkmcnt(1)
	v_sub_f32_e32 v2, v6, v5
	v_add_f32_e32 v4, v5, v6
	v_cndmask_b32_e32 v2, v2, v4, vcc
	ds_bpermute_b32 v4, v21, v9
	s_waitcnt lgkmcnt(1)
	v_sub_f32_e32 v5, v3, v8
	v_add_f32_e32 v3, v8, v3
	;; [unrolled: 5-line block ×11, first 2 shown]
	ds_bpermute_b32 v16, v21, v13
	v_cndmask_b32_e32 v10, v10, v11, vcc
	s_waitcnt lgkmcnt(1)
	v_sub_f32_e32 v11, v17, v12
	v_add_f32_e32 v12, v12, v17
	ds_bpermute_b32 v17, v21, v20
	v_cndmask_b32_e32 v11, v11, v12, vcc
	s_waitcnt lgkmcnt(1)
	v_sub_f32_e32 v12, v16, v13
	v_add_f32_e32 v13, v13, v16
	;; [unrolled: 5-line block ×3, first 2 shown]
	v_cndmask_b32_e32 v13, v13, v17, vcc
	s_waitcnt lgkmcnt(0)
	v_sub_f32_e32 v17, v16, v22
	v_add_f32_e32 v16, v22, v16
	v_pk_mul_f32 v[2:3], v[2:3], s[4:5] op_sel_hi:[1,0]
	v_pk_mul_f32 v[4:5], v[4:5], s[4:5] op_sel_hi:[1,0]
	;; [unrolled: 1-line block ×3, first 2 shown]
	v_cndmask_b32_e32 v16, v17, v16, vcc
	v_cvt_f16_f32_e32 v3, v3
	v_cvt_f16_f32_e32 v17, v5
	;; [unrolled: 1-line block ×6, first 2 shown]
	v_fma_mixlo_f16 v0, v0, s4, 0
	v_pack_b32_f16 v4, v17, v6
	v_pack_b32_f16 v3, v3, v18
	;; [unrolled: 1-line block ×3, first 2 shown]
	v_fma_mixhi_f16 v5, v14, s4, 0
	buffer_store_dwordx4 v[2:5], v1, s[0:3], 0 offen
	v_pk_mul_f32 v[6:7], v[12:13], s[4:5] op_sel_hi:[1,0]
	v_pk_mul_f32 v[2:3], v[8:9], s[4:5] op_sel_hi:[1,0]
	;; [unrolled: 1-line block ×3, first 2 shown]
	v_cvt_f16_f32_e32 v3, v3
	v_cvt_f16_f32_e32 v8, v5
	;; [unrolled: 1-line block ×6, first 2 shown]
	v_fma_mixlo_f16 v0, v15, s4, 0
	v_pack_b32_f16 v4, v8, v6
	v_pack_b32_f16 v3, v3, v9
	;; [unrolled: 1-line block ×3, first 2 shown]
	v_fma_mixhi_f16 v5, v16, s4, 0
	;;#ASMSTART
	s_nop 0
	;;#ASMEND
	buffer_store_dwordx4 v[2:5], v1, s[0:3], 16 offen
	;;#ASMSTART
	s_nop 0
	;;#ASMEND
	s_endpgm
	.section	.rodata,"a",@progbits
	.p2align	6, 0x0
	.amdhsa_kernel _ZN5aiter55rope_hadamard_rotate_activation_fp4quant_inplace_kernelIDF16_Li512ELb0ELi16EEEvPT_PKS1_S4_S4_PKliiiii
		.amdhsa_group_segment_fixed_size 0
		.amdhsa_private_segment_fixed_size 0
		.amdhsa_kernarg_size 60
		.amdhsa_user_sgpr_count 6
		.amdhsa_user_sgpr_private_segment_buffer 1
		.amdhsa_user_sgpr_dispatch_ptr 0
		.amdhsa_user_sgpr_queue_ptr 0
		.amdhsa_user_sgpr_kernarg_segment_ptr 1
		.amdhsa_user_sgpr_dispatch_id 0
		.amdhsa_user_sgpr_flat_scratch_init 0
		.amdhsa_user_sgpr_kernarg_preload_length 0
		.amdhsa_user_sgpr_kernarg_preload_offset 0
		.amdhsa_user_sgpr_private_segment_size 0
		.amdhsa_uses_dynamic_stack 0
		.amdhsa_system_sgpr_private_segment_wavefront_offset 0
		.amdhsa_system_sgpr_workgroup_id_x 1
		.amdhsa_system_sgpr_workgroup_id_y 0
		.amdhsa_system_sgpr_workgroup_id_z 0
		.amdhsa_system_sgpr_workgroup_info 0
		.amdhsa_system_vgpr_workitem_id 0
		.amdhsa_next_free_vgpr 54
		.amdhsa_next_free_sgpr 20
		.amdhsa_accum_offset 56
		.amdhsa_reserve_vcc 1
		.amdhsa_reserve_flat_scratch 0
		.amdhsa_float_round_mode_32 0
		.amdhsa_float_round_mode_16_64 0
		.amdhsa_float_denorm_mode_32 3
		.amdhsa_float_denorm_mode_16_64 3
		.amdhsa_dx10_clamp 1
		.amdhsa_ieee_mode 1
		.amdhsa_fp16_overflow 0
		.amdhsa_tg_split 0
		.amdhsa_exception_fp_ieee_invalid_op 0
		.amdhsa_exception_fp_denorm_src 0
		.amdhsa_exception_fp_ieee_div_zero 0
		.amdhsa_exception_fp_ieee_overflow 0
		.amdhsa_exception_fp_ieee_underflow 0
		.amdhsa_exception_fp_ieee_inexact 0
		.amdhsa_exception_int_div_zero 0
	.end_amdhsa_kernel
	.section	.text._ZN5aiter55rope_hadamard_rotate_activation_fp4quant_inplace_kernelIDF16_Li512ELb0ELi16EEEvPT_PKS1_S4_S4_PKliiiii,"axG",@progbits,_ZN5aiter55rope_hadamard_rotate_activation_fp4quant_inplace_kernelIDF16_Li512ELb0ELi16EEEvPT_PKS1_S4_S4_PKliiiii,comdat
.Lfunc_end29:
	.size	_ZN5aiter55rope_hadamard_rotate_activation_fp4quant_inplace_kernelIDF16_Li512ELb0ELi16EEEvPT_PKS1_S4_S4_PKliiiii, .Lfunc_end29-_ZN5aiter55rope_hadamard_rotate_activation_fp4quant_inplace_kernelIDF16_Li512ELb0ELi16EEEvPT_PKS1_S4_S4_PKliiiii
                                        ; -- End function
	.section	.AMDGPU.csdata,"",@progbits
; Kernel info:
; codeLenInByte = 3496
; NumSgprs: 24
; NumVgprs: 54
; NumAgprs: 0
; TotalNumVgprs: 54
; ScratchSize: 0
; MemoryBound: 0
; FloatMode: 240
; IeeeMode: 1
; LDSByteSize: 0 bytes/workgroup (compile time only)
; SGPRBlocks: 2
; VGPRBlocks: 6
; NumSGPRsForWavesPerEU: 24
; NumVGPRsForWavesPerEU: 54
; AccumOffset: 56
; Occupancy: 8
; WaveLimiterHint : 1
; COMPUTE_PGM_RSRC2:SCRATCH_EN: 0
; COMPUTE_PGM_RSRC2:USER_SGPR: 6
; COMPUTE_PGM_RSRC2:TRAP_HANDLER: 0
; COMPUTE_PGM_RSRC2:TGID_X_EN: 1
; COMPUTE_PGM_RSRC2:TGID_Y_EN: 0
; COMPUTE_PGM_RSRC2:TGID_Z_EN: 0
; COMPUTE_PGM_RSRC2:TIDIG_COMP_CNT: 0
; COMPUTE_PGM_RSRC3_GFX90A:ACCUM_OFFSET: 13
; COMPUTE_PGM_RSRC3_GFX90A:TG_SPLIT: 0
	.section	.text._ZN5aiter55rope_hadamard_rotate_activation_fp4quant_inplace_kernelItLi512ELb0ELi16EEEvPT_PKS1_S4_S4_PKliiiii,"axG",@progbits,_ZN5aiter55rope_hadamard_rotate_activation_fp4quant_inplace_kernelItLi512ELb0ELi16EEEvPT_PKS1_S4_S4_PKliiiii,comdat
	.protected	_ZN5aiter55rope_hadamard_rotate_activation_fp4quant_inplace_kernelItLi512ELb0ELi16EEEvPT_PKS1_S4_S4_PKliiiii ; -- Begin function _ZN5aiter55rope_hadamard_rotate_activation_fp4quant_inplace_kernelItLi512ELb0ELi16EEEvPT_PKS1_S4_S4_PKliiiii
	.globl	_ZN5aiter55rope_hadamard_rotate_activation_fp4quant_inplace_kernelItLi512ELb0ELi16EEEvPT_PKS1_S4_S4_PKliiiii
	.p2align	8
	.type	_ZN5aiter55rope_hadamard_rotate_activation_fp4quant_inplace_kernelItLi512ELb0ELi16EEEvPT_PKS1_S4_S4_PKliiiii,@function
_ZN5aiter55rope_hadamard_rotate_activation_fp4quant_inplace_kernelItLi512ELb0ELi16EEEvPT_PKS1_S4_S4_PKliiiii: ; @_ZN5aiter55rope_hadamard_rotate_activation_fp4quant_inplace_kernelItLi512ELb0ELi16EEEvPT_PKS1_S4_S4_PKliiiii
; %bb.0:
	s_load_dwordx4 s[8:11], s[4:5], 0x28
	s_load_dwordx4 s[0:3], s[4:5], 0x0
	s_lshl_b32 s14, s6, 1
	s_mov_b32 s19, 0x20000
	v_lshlrev_b32_e32 v1, 5, v0
	s_waitcnt lgkmcnt(0)
	s_sub_i32 s6, s8, s14
	s_min_i32 s12, s6, 2
	s_mul_hi_i32 s7, s11, s14
	s_mul_i32 s6, s11, s14
	s_sub_i32 s13, 0x200, s10
	s_lshl_b64 s[6:7], s[6:7], 1
	s_add_u32 s16, s2, s6
	s_addc_u32 s2, s3, s7
	s_mul_i32 s3, s12, s11
	s_lshl_b32 s18, s3, 1
	s_and_b32 s17, s2, 0xffff
	buffer_load_dwordx4 v[6:9], v1, s[16:19], 0 offen
	buffer_load_dwordx4 v[2:5], v1, s[16:19], 16 offen
	v_lshrrev_b32_e32 v12, 5, v0
	v_lshlrev_b32_e32 v11, 4, v0
	v_lshlrev_b32_e32 v15, 9, v12
	v_sub_u32_e32 v11, v11, v15
	v_cmp_le_i32_e32 vcc, s13, v11
	s_waitcnt vmcnt(1)
	v_cvt_f32_u32_sdwa v39, v6 dst_sel:DWORD dst_unused:UNUSED_PAD src0_sel:WORD_1
	v_cvt_f32_u32_sdwa v37, v6 dst_sel:DWORD dst_unused:UNUSED_PAD src0_sel:WORD_0
	v_cvt_f32_u32_sdwa v35, v7 dst_sel:DWORD dst_unused:UNUSED_PAD src0_sel:WORD_1
	v_cvt_f32_u32_sdwa v36, v7 dst_sel:DWORD dst_unused:UNUSED_PAD src0_sel:WORD_0
	v_cvt_f32_u32_sdwa v29, v8 dst_sel:DWORD dst_unused:UNUSED_PAD src0_sel:WORD_1
	v_cvt_f32_u32_sdwa v26, v8 dst_sel:DWORD dst_unused:UNUSED_PAD src0_sel:WORD_0
	v_cvt_f32_u32_sdwa v31, v9 dst_sel:DWORD dst_unused:UNUSED_PAD src0_sel:WORD_1
	v_cvt_f32_u32_sdwa v32, v9 dst_sel:DWORD dst_unused:UNUSED_PAD src0_sel:WORD_0
	s_waitcnt vmcnt(0)
	v_cvt_f32_u32_sdwa v23, v3 dst_sel:DWORD dst_unused:UNUSED_PAD src0_sel:WORD_0
	v_cvt_f32_u32_sdwa v18, v2 dst_sel:DWORD dst_unused:UNUSED_PAD src0_sel:WORD_0
	v_cvt_f32_u32_sdwa v25, v3 dst_sel:DWORD dst_unused:UNUSED_PAD src0_sel:WORD_1
	v_cvt_f32_u32_sdwa v20, v2 dst_sel:DWORD dst_unused:UNUSED_PAD src0_sel:WORD_1
	;; [unrolled: 1-line block ×3, first 2 shown]
	v_cvt_f32_u32_sdwa v10, v4 dst_sel:DWORD dst_unused:UNUSED_PAD src0_sel:WORD_0
	v_cvt_f32_u32_sdwa v14, v5 dst_sel:DWORD dst_unused:UNUSED_PAD src0_sel:WORD_1
	v_cvt_f32_u32_sdwa v16, v5 dst_sel:DWORD dst_unused:UNUSED_PAD src0_sel:WORD_0
	s_and_saveexec_b64 s[2:3], vcc
	s_xor_b64 s[2:3], exec, s[2:3]
	s_cbranch_execz .LBB30_2
; %bb.1:
	v_add_u32_e32 v10, s14, v12
	s_add_i32 s11, s8, -1
	s_load_dwordx2 s[16:17], s[4:5], 0x20
	v_mov_b32_e32 v12, s11
	v_cmp_gt_i32_e32 vcc, s8, v10
	v_cndmask_b32_e32 v10, v12, v10, vcc
	s_ff1_i32_b32 s8, s9
	v_ashrrev_i32_e32 v12, s8, v10
	v_ashrrev_i32_e32 v13, 31, v12
	v_lshlrev_b64 v[12:13], 3, v[12:13]
	s_waitcnt lgkmcnt(0)
	v_mov_b32_e32 v10, s17
	v_add_co_u32_e32 v12, vcc, s16, v12
	v_addc_co_u32_e32 v13, vcc, v10, v13, vcc
	global_load_dwordx2 v[12:13], v[12:13], off
	s_load_dwordx4 s[16:19], s[4:5], 0x10
	s_lshr_b32 s4, s10, 31
	s_add_i32 s4, s10, s4
	s_ashr_i32 s4, s4, 1
	s_ashr_i32 s5, s4, 31
	v_subrev_u32_e32 v10, s13, v11
	v_lshrrev_b32_e32 v11, 31, v10
	v_add_u32_e32 v10, v10, v11
	s_waitcnt lgkmcnt(0)
	v_mov_b32_e32 v14, s17
	v_ashrrev_i32_e32 v10, 1, v10
	v_ashrrev_i32_e32 v11, 31, v10
	v_mov_b32_e32 v15, s19
	v_lshlrev_b64 v[10:11], 1, v[10:11]
	v_cvt_f32_u32_sdwa v41, v6 dst_sel:DWORD dst_unused:UNUSED_PAD src0_sel:WORD_1
	v_cvt_f32_u32_sdwa v40, v6 dst_sel:DWORD dst_unused:UNUSED_PAD src0_sel:WORD_0
	v_cvt_f32_u32_sdwa v6, v8 dst_sel:DWORD dst_unused:UNUSED_PAD src0_sel:WORD_0
	v_cvt_f32_u32_sdwa v43, v5 dst_sel:DWORD dst_unused:UNUSED_PAD src0_sel:WORD_1
	v_cvt_f32_u32_sdwa v42, v5 dst_sel:DWORD dst_unused:UNUSED_PAD src0_sel:WORD_0
	v_cvt_f32_u32_sdwa v39, v4 dst_sel:DWORD dst_unused:UNUSED_PAD src0_sel:WORD_1
	v_cvt_f32_u32_sdwa v38, v4 dst_sel:DWORD dst_unused:UNUSED_PAD src0_sel:WORD_0
	v_mov_b32_e32 v4, v43
	s_waitcnt vmcnt(0)
	v_mul_lo_u32 v16, v13, s4
	v_mul_lo_u32 v17, v12, s5
	v_mad_u64_u32 v[12:13], s[4:5], v12, s4, 0
	v_add3_u32 v13, v13, v17, v16
	v_lshlrev_b64 v[12:13], 1, v[12:13]
	v_add_co_u32_e32 v16, vcc, s16, v12
	v_addc_co_u32_e32 v14, vcc, v14, v13, vcc
	v_add_co_u32_e32 v12, vcc, s18, v12
	v_addc_co_u32_e32 v13, vcc, v15, v13, vcc
	;; [unrolled: 2-line block ×4, first 2 shown]
	global_load_dwordx4 v[10:13], v[18:19], off
	global_load_dwordx4 v[14:17], v[20:21], off
	v_cvt_f32_u32_sdwa v19, v7 dst_sel:DWORD dst_unused:UNUSED_PAD src0_sel:WORD_1
	v_cvt_f32_u32_sdwa v18, v7 dst_sel:DWORD dst_unused:UNUSED_PAD src0_sel:WORD_0
	v_cvt_f32_u32_sdwa v7, v8 dst_sel:DWORD dst_unused:UNUSED_PAD src0_sel:WORD_1
	v_cvt_f32_u32_sdwa v21, v9 dst_sel:DWORD dst_unused:UNUSED_PAD src0_sel:WORD_1
	v_cvt_f32_u32_sdwa v20, v9 dst_sel:DWORD dst_unused:UNUSED_PAD src0_sel:WORD_0
	v_cvt_f32_u32_sdwa v9, v3 dst_sel:DWORD dst_unused:UNUSED_PAD src0_sel:WORD_0
	;; [unrolled: 1-line block ×3, first 2 shown]
	v_cvt_f32_u32_sdwa v3, v3 dst_sel:DWORD dst_unused:UNUSED_PAD src0_sel:WORD_1
	v_cvt_f32_u32_sdwa v2, v2 dst_sel:DWORD dst_unused:UNUSED_PAD src0_sel:WORD_1
	s_waitcnt vmcnt(1)
	v_cvt_f32_u32_sdwa v45, v10 dst_sel:DWORD dst_unused:UNUSED_PAD src0_sel:WORD_0
	s_waitcnt vmcnt(0)
	v_cvt_f32_u32_sdwa v44, v14 dst_sel:DWORD dst_unused:UNUSED_PAD src0_sel:WORD_0
	v_cvt_f32_u32_sdwa v14, v14 dst_sel:DWORD dst_unused:UNUSED_PAD src0_sel:WORD_1
	v_cvt_f32_u32_sdwa v24, v15 dst_sel:DWORD dst_unused:UNUSED_PAD src0_sel:WORD_0
	v_cvt_f32_u32_sdwa v26, v15 dst_sel:DWORD dst_unused:UNUSED_PAD src0_sel:WORD_1
	v_cvt_f32_u32_sdwa v47, v16 dst_sel:DWORD dst_unused:UNUSED_PAD src0_sel:WORD_1
	v_cvt_f32_u32_sdwa v46, v12 dst_sel:DWORD dst_unused:UNUSED_PAD src0_sel:WORD_0
	v_cvt_f32_u32_sdwa v49, v12 dst_sel:DWORD dst_unused:UNUSED_PAD src0_sel:WORD_1
	v_cvt_f32_u32_sdwa v48, v16 dst_sel:DWORD dst_unused:UNUSED_PAD src0_sel:WORD_0
	v_cvt_f32_u32_sdwa v51, v13 dst_sel:DWORD dst_unused:UNUSED_PAD src0_sel:WORD_1
	v_cvt_f32_u32_sdwa v50, v17 dst_sel:DWORD dst_unused:UNUSED_PAD src0_sel:WORD_1
	;; [unrolled: 1-line block ×3, first 2 shown]
	v_cvt_f32_u32_sdwa v22, v11 dst_sel:DWORD dst_unused:UNUSED_PAD src0_sel:WORD_0
	v_cvt_f32_u32_sdwa v30, v11 dst_sel:DWORD dst_unused:UNUSED_PAD src0_sel:WORD_1
	v_cvt_f32_u32_sdwa v16, v17 dst_sel:DWORD dst_unused:UNUSED_PAD src0_sel:WORD_0
	v_cvt_f32_u32_sdwa v12, v13 dst_sel:DWORD dst_unused:UNUSED_PAD src0_sel:WORD_0
	v_pk_mul_f32 v[28:29], v[44:45], v[40:41]
	v_pk_mul_f32 v[14:15], v[14:15], v[18:19] op_sel_hi:[0,1]
	v_pk_mul_f32 v[24:25], v[24:25], v[6:7] op_sel_hi:[0,1]
	;; [unrolled: 1-line block ×3, first 2 shown]
	v_pk_mul_f32 v[54:55], v[48:49], v[2:3]
	v_pk_mul_f32 v[2:3], v[46:47], v[2:3]
	;; [unrolled: 1-line block ×3, first 2 shown]
	v_pk_mul_f32 v[16:17], v[16:17], v[38:39] op_sel_hi:[0,1]
	v_mov_b32_e32 v56, v51
	v_pk_mul_f32 v[4:5], v[4:5], v[50:51] op_sel_hi:[0,1]
	v_mul_f32_e32 v58, v45, v40
	v_mov_b32_e32 v57, v28
	v_pk_fma_f32 v[36:37], v[10:11], v[18:19], v[14:15] op_sel:[0,0,1] op_sel_hi:[0,1,0] neg_lo:[0,0,1] neg_hi:[0,0,1]
	v_pk_fma_f32 v[26:27], v[22:23], v[6:7], v[24:25] op_sel:[0,0,1] op_sel_hi:[0,1,0] neg_lo:[0,0,1] neg_hi:[0,0,1]
	v_pk_fma_f32 v[28:29], v[22:23], v[6:7], v[24:25] op_sel:[0,0,1] op_sel_hi:[0,1,0]
	v_pk_fma_f32 v[32:33], v[30:31], v[20:21], v[52:53] op_sel:[0,0,1] op_sel_hi:[0,1,0] neg_lo:[0,0,1] neg_hi:[0,0,1]
	v_pk_fma_f32 v[30:31], v[30:31], v[20:21], v[52:53] op_sel:[0,0,1] op_sel_hi:[0,1,0]
	v_pk_fma_f32 v[20:21], v[48:49], v[8:9], v[2:3]
	v_pk_fma_f32 v[22:23], v[48:49], v[8:9], v[2:3] neg_lo:[0,0,1] neg_hi:[0,0,1]
	v_mov_b32_e32 v2, v59
	v_pk_fma_f32 v[34:35], v[10:11], v[18:19], v[14:15] op_sel:[0,0,1] op_sel_hi:[0,1,0]
	v_pk_fma_f32 v[18:19], v[46:47], v[8:9], v[54:55] neg_lo:[0,0,1] neg_hi:[0,0,1]
	v_pk_fma_f32 v[24:25], v[46:47], v[8:9], v[54:55]
	v_pk_fma_f32 v[10:11], v[12:13], v[38:39], v[16:17] op_sel:[0,0,1] op_sel_hi:[0,1,0] neg_lo:[0,0,1] neg_hi:[0,0,1]
	v_pk_fma_f32 v[12:13], v[12:13], v[38:39], v[16:17] op_sel:[0,0,1] op_sel_hi:[0,1,0]
	v_pk_fma_f32 v[16:17], v[56:57], v[42:43], v[4:5] op_sel_hi:[0,1,1] neg_lo:[0,0,1] neg_hi:[0,0,1]
	v_pk_fma_f32 v[38:39], v[44:45], v[40:41], v[56:57]
	v_pk_fma_f32 v[14:15], v[50:51], v[42:43], v[2:3]
	v_fma_f32 v37, -v41, v44, v58
.LBB30_2:
	s_andn2_saveexec_b64 s[2:3], s[2:3]
	s_or_b64 exec, exec, s[2:3]
	v_mov_b32_e32 v38, v35
	v_mov_b32_e32 v6, v39
	;; [unrolled: 1-line block ×6, first 2 shown]
	v_pk_add_f32 v[2:3], v[36:37], v[38:39]
	v_pk_add_f32 v[4:5], v[36:37], v[38:39] neg_lo:[0,1] neg_hi:[0,1]
	v_pk_add_f32 v[8:9], v[6:7], v[34:35]
	v_pk_add_f32 v[6:7], v[6:7], v[34:35] neg_lo:[0,1] neg_hi:[0,1]
	;; [unrolled: 2-line block ×3, first 2 shown]
	v_mov_b32_e32 v28, v29
	v_mov_b32_e32 v29, v32
	;; [unrolled: 1-line block ×3, first 2 shown]
	v_pk_add_f32 v[30:31], v[28:29], v[26:27]
	v_pk_add_f32 v[26:27], v[28:29], v[26:27] neg_lo:[0,1] neg_hi:[0,1]
	v_mov_b32_e32 v28, v23
	v_mov_b32_e32 v29, v18
	;; [unrolled: 1-line block ×11, first 2 shown]
	v_pk_add_f32 v[38:39], v[28:29], v[32:33]
	v_pk_add_f32 v[28:29], v[28:29], v[32:33] neg_lo:[0,1] neg_hi:[0,1]
	v_pk_add_f32 v[22:23], v[20:21], v[18:19]
	v_pk_add_f32 v[18:19], v[20:21], v[18:19] neg_lo:[0,1] neg_hi:[0,1]
	;; [unrolled: 2-line block ×4, first 2 shown]
	v_mov_b32_e32 v3, v5
	v_mov_b32_e32 v9, v7
	;; [unrolled: 1-line block ×8, first 2 shown]
	v_pk_add_f32 v[12:13], v[8:9], v[2:3]
	v_pk_add_f32 v[16:17], v[30:31], v[34:35]
	;; [unrolled: 1-line block ×4, first 2 shown]
	v_mov_b32_e32 v9, v5
	v_mov_b32_e32 v3, v7
	;; [unrolled: 1-line block ×8, first 2 shown]
	v_pk_add_f32 v[2:3], v[8:9], v[2:3] neg_lo:[0,1] neg_hi:[0,1]
	v_pk_add_f32 v[4:5], v[30:31], v[34:35] neg_lo:[0,1] neg_hi:[0,1]
	;; [unrolled: 1-line block ×4, first 2 shown]
	v_pk_add_f32 v[42:43], v[12:13], v[16:17]
	v_pk_add_f32 v[44:45], v[32:33], v[40:41]
	;; [unrolled: 1-line block ×3, first 2 shown]
	v_pk_add_f32 v[2:3], v[2:3], v[4:5] neg_lo:[0,1] neg_hi:[0,1]
	v_pk_add_f32 v[4:5], v[6:7], v[8:9] neg_lo:[0,1] neg_hi:[0,1]
	v_pk_add_f32 v[46:47], v[42:43], v[44:45]
	v_pk_add_f32 v[14:15], v[6:7], v[8:9]
	;; [unrolled: 1-line block ×3, first 2 shown]
	v_pk_add_f32 v[2:3], v[2:3], v[4:5] neg_lo:[0,1] neg_hi:[0,1]
	v_and_b32_e32 v4, 1, v0
	v_sub_f32_dpp v5, v46, v46 quad_perm:[1,0,3,2] row_mask:0xf bank_mask:0xf bound_ctrl:1
	v_add_f32_dpp v8, v46, v46 quad_perm:[1,0,3,2] row_mask:0xf bank_mask:0xf bound_ctrl:1
	v_cmp_eq_u32_e32 vcc, 0, v4
	v_pk_add_f32 v[18:19], v[10:11], v[14:15]
	v_cndmask_b32_e32 v4, v5, v8, vcc
	v_sub_f32_dpp v5, v47, v47 quad_perm:[1,0,3,2] row_mask:0xf bank_mask:0xf bound_ctrl:1
	v_add_f32_dpp v8, v47, v47 quad_perm:[1,0,3,2] row_mask:0xf bank_mask:0xf bound_ctrl:1
	v_pk_add_f32 v[10:11], v[10:11], v[14:15] neg_lo:[0,1] neg_hi:[0,1]
	v_pk_add_f32 v[12:13], v[12:13], v[16:17] neg_lo:[0,1] neg_hi:[0,1]
	;; [unrolled: 1-line block ×3, first 2 shown]
	v_cndmask_b32_e32 v5, v5, v8, vcc
	v_sub_f32_dpp v8, v18, v18 quad_perm:[1,0,3,2] row_mask:0xf bank_mask:0xf bound_ctrl:1
	v_add_f32_dpp v9, v18, v18 quad_perm:[1,0,3,2] row_mask:0xf bank_mask:0xf bound_ctrl:1
	v_pk_add_f32 v[16:17], v[12:13], v[14:15]
	v_pk_add_f32 v[12:13], v[12:13], v[14:15] neg_lo:[0,1] neg_hi:[0,1]
	v_cndmask_b32_e32 v8, v8, v9, vcc
	v_sub_f32_dpp v9, v19, v19 quad_perm:[1,0,3,2] row_mask:0xf bank_mask:0xf bound_ctrl:1
	v_add_f32_dpp v14, v19, v19 quad_perm:[1,0,3,2] row_mask:0xf bank_mask:0xf bound_ctrl:1
	v_cndmask_b32_e32 v9, v9, v14, vcc
	v_add_f32_dpp v15, v16, v16 quad_perm:[1,0,3,2] row_mask:0xf bank_mask:0xf bound_ctrl:1
	v_sub_f32_dpp v14, v16, v16 quad_perm:[1,0,3,2] row_mask:0xf bank_mask:0xf bound_ctrl:1
	v_cndmask_b32_e32 v14, v14, v15, vcc
	v_sub_f32_dpp v15, v17, v17 quad_perm:[1,0,3,2] row_mask:0xf bank_mask:0xf bound_ctrl:1
	v_add_f32_dpp v16, v17, v17 quad_perm:[1,0,3,2] row_mask:0xf bank_mask:0xf bound_ctrl:1
	v_cndmask_b32_e32 v15, v15, v16, vcc
	v_pk_add_f32 v[42:43], v[42:43], v[44:45] neg_lo:[0,1] neg_hi:[0,1]
	v_sub_f32_dpp v16, v6, v6 quad_perm:[1,0,3,2] row_mask:0xf bank_mask:0xf bound_ctrl:1
	v_add_f32_dpp v6, v6, v6 quad_perm:[1,0,3,2] row_mask:0xf bank_mask:0xf bound_ctrl:1
	v_cndmask_b32_e32 v6, v16, v6, vcc
	v_sub_f32_dpp v16, v7, v7 quad_perm:[1,0,3,2] row_mask:0xf bank_mask:0xf bound_ctrl:1
	v_add_f32_dpp v7, v7, v7 quad_perm:[1,0,3,2] row_mask:0xf bank_mask:0xf bound_ctrl:1
	v_cndmask_b32_e32 v7, v16, v7, vcc
	;; [unrolled: 3-line block ×3, first 2 shown]
	v_add_f32_dpp v18, v43, v43 quad_perm:[1,0,3,2] row_mask:0xf bank_mask:0xf bound_ctrl:1
	v_sub_f32_dpp v17, v43, v43 quad_perm:[1,0,3,2] row_mask:0xf bank_mask:0xf bound_ctrl:1
	v_cndmask_b32_e32 v17, v17, v18, vcc
	v_sub_f32_dpp v18, v10, v10 quad_perm:[1,0,3,2] row_mask:0xf bank_mask:0xf bound_ctrl:1
	v_add_f32_dpp v10, v10, v10 quad_perm:[1,0,3,2] row_mask:0xf bank_mask:0xf bound_ctrl:1
	v_cndmask_b32_e32 v10, v18, v10, vcc
	v_sub_f32_dpp v18, v11, v11 quad_perm:[1,0,3,2] row_mask:0xf bank_mask:0xf bound_ctrl:1
	v_add_f32_dpp v11, v11, v11 quad_perm:[1,0,3,2] row_mask:0xf bank_mask:0xf bound_ctrl:1
	;; [unrolled: 3-line block ×6, first 2 shown]
	v_cndmask_b32_e32 v3, v18, v3, vcc
	v_and_b32_e32 v18, 2, v0
	v_cmp_eq_u32_e32 vcc, 0, v18
	v_sub_f32_dpp v19, v4, v4 quad_perm:[2,3,0,1] row_mask:0xf bank_mask:0xf bound_ctrl:1
	v_sub_f32_dpp v18, v5, v5 quad_perm:[2,3,0,1] row_mask:0xf bank_mask:0xf bound_ctrl:1
	v_add_f32_dpp v5, v5, v5 quad_perm:[2,3,0,1] row_mask:0xf bank_mask:0xf bound_ctrl:1
	v_cndmask_b32_e32 v5, v18, v5, vcc
	v_sub_f32_dpp v18, v8, v8 quad_perm:[2,3,0,1] row_mask:0xf bank_mask:0xf bound_ctrl:1
	v_add_f32_dpp v8, v8, v8 quad_perm:[2,3,0,1] row_mask:0xf bank_mask:0xf bound_ctrl:1
	v_cndmask_b32_e32 v8, v18, v8, vcc
	;; [unrolled: 3-line block ×12, first 2 shown]
	v_sub_f32_dpp v18, v13, v13 quad_perm:[2,3,0,1] row_mask:0xf bank_mask:0xf bound_ctrl:1
	v_add_f32_dpp v13, v13, v13 quad_perm:[2,3,0,1] row_mask:0xf bank_mask:0xf bound_ctrl:1
	v_add_f32_dpp v4, v4, v4 quad_perm:[2,3,0,1] row_mask:0xf bank_mask:0xf bound_ctrl:1
	v_cndmask_b32_e32 v13, v18, v13, vcc
	v_sub_f32_dpp v18, v2, v2 quad_perm:[2,3,0,1] row_mask:0xf bank_mask:0xf bound_ctrl:1
	v_add_f32_dpp v2, v2, v2 quad_perm:[2,3,0,1] row_mask:0xf bank_mask:0xf bound_ctrl:1
	v_cndmask_b32_e32 v4, v19, v4, vcc
	v_cndmask_b32_e32 v2, v18, v2, vcc
	v_sub_f32_dpp v18, v3, v3 quad_perm:[2,3,0,1] row_mask:0xf bank_mask:0xf bound_ctrl:1
	v_add_f32_dpp v3, v3, v3 quad_perm:[2,3,0,1] row_mask:0xf bank_mask:0xf bound_ctrl:1
	v_cndmask_b32_e32 v3, v18, v3, vcc
	v_mov_b32_dpp v18, v4 row_shl:4 row_mask:0xf bank_mask:0x5 bound_ctrl:1
	v_and_b32_e32 v19, 4, v0
	v_cmp_eq_u32_e32 vcc, 0, v19
	v_mov_b32_dpp v18, v4 row_shr:4 row_mask:0xf bank_mask:0xa bound_ctrl:1
	v_sub_f32_e32 v20, v18, v4
	v_add_f32_e32 v4, v4, v18
	v_mov_b32_dpp v18, v5 row_shl:4 row_mask:0xf bank_mask:0x5 bound_ctrl:1
	v_cndmask_b32_e32 v4, v20, v4, vcc
	s_add_u32 s0, s0, s6
	v_mov_b32_dpp v18, v5 row_shr:4 row_mask:0xf bank_mask:0xa bound_ctrl:1
	v_sub_f32_e32 v19, v18, v5
	v_add_f32_e32 v5, v5, v18
	v_mov_b32_dpp v18, v8 row_shl:4 row_mask:0xf bank_mask:0x5 bound_ctrl:1
	v_cndmask_b32_e32 v5, v19, v5, vcc
	s_mov_b32 s4, 0x3d3504f3
	v_mov_b32_dpp v18, v8 row_shr:4 row_mask:0xf bank_mask:0xa bound_ctrl:1
	v_sub_f32_e32 v19, v18, v8
	v_add_f32_e32 v8, v8, v18
	v_mov_b32_dpp v18, v9 row_shl:4 row_mask:0xf bank_mask:0x5 bound_ctrl:1
	v_cndmask_b32_e32 v8, v19, v8, vcc
	s_addc_u32 s1, s1, s7
	v_mov_b32_dpp v18, v9 row_shr:4 row_mask:0xf bank_mask:0xa bound_ctrl:1
	v_sub_f32_e32 v19, v18, v9
	v_add_f32_e32 v9, v9, v18
	v_mov_b32_dpp v18, v14 row_shl:4 row_mask:0xf bank_mask:0x5 bound_ctrl:1
	v_cndmask_b32_e32 v9, v19, v9, vcc
	s_lshl_b32 s2, s12, 10
	v_mov_b32_dpp v18, v14 row_shr:4 row_mask:0xf bank_mask:0xa bound_ctrl:1
	v_sub_f32_e32 v19, v18, v14
	v_add_f32_e32 v14, v14, v18
	v_mov_b32_dpp v18, v15 row_shl:4 row_mask:0xf bank_mask:0x5 bound_ctrl:1
	v_cndmask_b32_e32 v14, v19, v14, vcc
	s_and_b32 s1, s1, 0xffff
	v_mov_b32_dpp v18, v15 row_shr:4 row_mask:0xf bank_mask:0xa bound_ctrl:1
	v_sub_f32_e32 v19, v18, v15
	v_add_f32_e32 v15, v15, v18
	v_mov_b32_dpp v18, v6 row_shl:4 row_mask:0xf bank_mask:0x5 bound_ctrl:1
	v_cndmask_b32_e32 v15, v19, v15, vcc
	s_mov_b32 s3, 0x20000
	v_mov_b32_dpp v18, v6 row_shr:4 row_mask:0xf bank_mask:0xa bound_ctrl:1
	v_sub_f32_e32 v19, v18, v6
	v_add_f32_e32 v6, v6, v18
	v_mov_b32_dpp v18, v7 row_shl:4 row_mask:0xf bank_mask:0x5 bound_ctrl:1
	v_cndmask_b32_e32 v6, v19, v6, vcc
	s_nop 0
	v_mov_b32_dpp v18, v7 row_shr:4 row_mask:0xf bank_mask:0xa bound_ctrl:1
	v_sub_f32_e32 v19, v18, v7
	v_add_f32_e32 v7, v7, v18
	v_mov_b32_dpp v18, v16 row_shl:4 row_mask:0xf bank_mask:0x5 bound_ctrl:1
	v_cndmask_b32_e32 v7, v19, v7, vcc
	s_nop 0
	;; [unrolled: 6-line block ×9, first 2 shown]
	v_mov_b32_dpp v18, v3 row_shr:4 row_mask:0xf bank_mask:0xa bound_ctrl:1
	v_sub_f32_e32 v19, v18, v3
	v_add_f32_e32 v3, v3, v18
	v_and_b32_e32 v18, 8, v0
	v_cndmask_b32_e32 v3, v19, v3, vcc
	v_cmp_eq_u32_e32 vcc, 0, v18
	v_sub_f32_dpp v18, v5, v5 row_ror:8 row_mask:0xf bank_mask:0xf bound_ctrl:1
	v_add_f32_dpp v5, v5, v5 row_ror:8 row_mask:0xf bank_mask:0xf bound_ctrl:1
	v_cndmask_b32_e32 v5, v18, v5, vcc
	v_sub_f32_dpp v18, v8, v8 row_ror:8 row_mask:0xf bank_mask:0xf bound_ctrl:1
	v_add_f32_dpp v8, v8, v8 row_ror:8 row_mask:0xf bank_mask:0xf bound_ctrl:1
	v_cndmask_b32_e32 v8, v18, v8, vcc
	;; [unrolled: 3-line block ×5, first 2 shown]
	v_sub_f32_dpp v18, v6, v6 row_ror:8 row_mask:0xf bank_mask:0xf bound_ctrl:1
	v_add_f32_dpp v6, v6, v6 row_ror:8 row_mask:0xf bank_mask:0xf bound_ctrl:1
	v_sub_f32_dpp v19, v4, v4 row_ror:8 row_mask:0xf bank_mask:0xf bound_ctrl:1
	v_add_f32_dpp v4, v4, v4 row_ror:8 row_mask:0xf bank_mask:0xf bound_ctrl:1
	v_cndmask_b32_e32 v18, v18, v6, vcc
	v_sub_f32_dpp v6, v7, v7 row_ror:8 row_mask:0xf bank_mask:0xf bound_ctrl:1
	v_add_f32_dpp v7, v7, v7 row_ror:8 row_mask:0xf bank_mask:0xf bound_ctrl:1
	v_cndmask_b32_e32 v4, v19, v4, vcc
	v_cndmask_b32_e32 v19, v6, v7, vcc
	v_sub_f32_dpp v6, v16, v16 row_ror:8 row_mask:0xf bank_mask:0xf bound_ctrl:1
	v_add_f32_dpp v7, v16, v16 row_ror:8 row_mask:0xf bank_mask:0xf bound_ctrl:1
	v_cndmask_b32_e32 v16, v6, v7, vcc
	v_sub_f32_dpp v6, v17, v17 row_ror:8 row_mask:0xf bank_mask:0xf bound_ctrl:1
	v_add_f32_dpp v7, v17, v17 row_ror:8 row_mask:0xf bank_mask:0xf bound_ctrl:1
	;; [unrolled: 3-line block ×7, first 2 shown]
	v_cndmask_b32_e32 v24, v6, v2, vcc
	v_mbcnt_lo_u32_b32 v2, -1, 0
	v_mbcnt_hi_u32_b32 v2, -1, v2
	v_lshlrev_b32_e32 v2, 2, v2
	v_xor_b32_e32 v25, 64, v2
	ds_bpermute_b32 v2, v25, v4
	v_sub_f32_dpp v6, v3, v3 row_ror:8 row_mask:0xf bank_mask:0xf bound_ctrl:1
	v_add_f32_dpp v3, v3, v3 row_ror:8 row_mask:0xf bank_mask:0xf bound_ctrl:1
	v_cndmask_b32_e32 v26, v6, v3, vcc
	v_and_b32_e32 v0, 16, v0
	ds_bpermute_b32 v6, v25, v5
	v_cmp_eq_u32_e32 vcc, 0, v0
	ds_bpermute_b32 v0, v25, v8
	s_waitcnt lgkmcnt(2)
	v_sub_f32_e32 v3, v2, v4
	v_add_f32_e32 v2, v4, v2
	v_cndmask_b32_e32 v2, v3, v2, vcc
	s_waitcnt lgkmcnt(1)
	v_sub_f32_e32 v3, v6, v5
	v_add_f32_e32 v4, v5, v6
	v_cndmask_b32_e32 v3, v3, v4, vcc
	ds_bpermute_b32 v5, v25, v9
	s_waitcnt lgkmcnt(1)
	v_sub_f32_e32 v4, v0, v8
	v_add_f32_e32 v0, v8, v0
	v_cndmask_b32_e32 v4, v4, v0, vcc
	ds_bpermute_b32 v0, v25, v14
	;; [unrolled: 5-line block ×12, first 2 shown]
	ds_bpermute_b32 v17, v25, v26
	s_waitcnt lgkmcnt(2)
	v_sub_f32_e32 v16, v15, v23
	v_add_f32_e32 v15, v23, v15
	v_cndmask_b32_e32 v15, v16, v15, vcc
	s_waitcnt lgkmcnt(1)
	v_sub_f32_e32 v16, v0, v24
	v_add_f32_e32 v0, v24, v0
	v_cndmask_b32_e32 v16, v16, v0, vcc
	s_waitcnt lgkmcnt(0)
	v_sub_f32_e32 v0, v17, v26
	v_add_f32_e32 v17, v26, v17
	v_pk_mul_f32 v[18:19], v[2:3], s[4:5] op_sel_hi:[1,0]
	v_pk_mul_f32 v[2:3], v[4:5], s[4:5] op_sel_hi:[1,0]
	;; [unrolled: 1-line block ×4, first 2 shown]
	s_mov_b32 s5, 0x7060302
	v_cndmask_b32_e32 v17, v0, v17, vcc
	v_perm_b32 v5, v5, v4, s5
	v_perm_b32 v4, v7, v6, s5
	;; [unrolled: 1-line block ×4, first 2 shown]
	buffer_store_dwordx4 v[2:5], v1, s[0:3], 0 offen
	v_pk_mul_f32 v[6:7], v[10:11], s[4:5] op_sel_hi:[1,0]
	v_pk_mul_f32 v[2:3], v[12:13], s[4:5] op_sel_hi:[1,0]
	;; [unrolled: 1-line block ×4, first 2 shown]
	v_perm_b32 v5, v5, v4, s5
	v_perm_b32 v4, v9, v8, s5
	;; [unrolled: 1-line block ×4, first 2 shown]
	;;#ASMSTART
	s_nop 0
	;;#ASMEND
	buffer_store_dwordx4 v[2:5], v1, s[0:3], 16 offen
	;;#ASMSTART
	s_nop 0
	;;#ASMEND
	s_endpgm
	.section	.rodata,"a",@progbits
	.p2align	6, 0x0
	.amdhsa_kernel _ZN5aiter55rope_hadamard_rotate_activation_fp4quant_inplace_kernelItLi512ELb0ELi16EEEvPT_PKS1_S4_S4_PKliiiii
		.amdhsa_group_segment_fixed_size 0
		.amdhsa_private_segment_fixed_size 0
		.amdhsa_kernarg_size 60
		.amdhsa_user_sgpr_count 6
		.amdhsa_user_sgpr_private_segment_buffer 1
		.amdhsa_user_sgpr_dispatch_ptr 0
		.amdhsa_user_sgpr_queue_ptr 0
		.amdhsa_user_sgpr_kernarg_segment_ptr 1
		.amdhsa_user_sgpr_dispatch_id 0
		.amdhsa_user_sgpr_flat_scratch_init 0
		.amdhsa_user_sgpr_kernarg_preload_length 0
		.amdhsa_user_sgpr_kernarg_preload_offset 0
		.amdhsa_user_sgpr_private_segment_size 0
		.amdhsa_uses_dynamic_stack 0
		.amdhsa_system_sgpr_private_segment_wavefront_offset 0
		.amdhsa_system_sgpr_workgroup_id_x 1
		.amdhsa_system_sgpr_workgroup_id_y 0
		.amdhsa_system_sgpr_workgroup_id_z 0
		.amdhsa_system_sgpr_workgroup_info 0
		.amdhsa_system_vgpr_workitem_id 0
		.amdhsa_next_free_vgpr 60
		.amdhsa_next_free_sgpr 20
		.amdhsa_accum_offset 60
		.amdhsa_reserve_vcc 1
		.amdhsa_reserve_flat_scratch 0
		.amdhsa_float_round_mode_32 0
		.amdhsa_float_round_mode_16_64 0
		.amdhsa_float_denorm_mode_32 3
		.amdhsa_float_denorm_mode_16_64 3
		.amdhsa_dx10_clamp 1
		.amdhsa_ieee_mode 1
		.amdhsa_fp16_overflow 0
		.amdhsa_tg_split 0
		.amdhsa_exception_fp_ieee_invalid_op 0
		.amdhsa_exception_fp_denorm_src 0
		.amdhsa_exception_fp_ieee_div_zero 0
		.amdhsa_exception_fp_ieee_overflow 0
		.amdhsa_exception_fp_ieee_underflow 0
		.amdhsa_exception_fp_ieee_inexact 0
		.amdhsa_exception_int_div_zero 0
	.end_amdhsa_kernel
	.section	.text._ZN5aiter55rope_hadamard_rotate_activation_fp4quant_inplace_kernelItLi512ELb0ELi16EEEvPT_PKS1_S4_S4_PKliiiii,"axG",@progbits,_ZN5aiter55rope_hadamard_rotate_activation_fp4quant_inplace_kernelItLi512ELb0ELi16EEEvPT_PKS1_S4_S4_PKliiiii,comdat
.Lfunc_end30:
	.size	_ZN5aiter55rope_hadamard_rotate_activation_fp4quant_inplace_kernelItLi512ELb0ELi16EEEvPT_PKS1_S4_S4_PKliiiii, .Lfunc_end30-_ZN5aiter55rope_hadamard_rotate_activation_fp4quant_inplace_kernelItLi512ELb0ELi16EEEvPT_PKS1_S4_S4_PKliiiii
                                        ; -- End function
	.section	.AMDGPU.csdata,"",@progbits
; Kernel info:
; codeLenInByte = 3556
; NumSgprs: 24
; NumVgprs: 60
; NumAgprs: 0
; TotalNumVgprs: 60
; ScratchSize: 0
; MemoryBound: 0
; FloatMode: 240
; IeeeMode: 1
; LDSByteSize: 0 bytes/workgroup (compile time only)
; SGPRBlocks: 2
; VGPRBlocks: 7
; NumSGPRsForWavesPerEU: 24
; NumVGPRsForWavesPerEU: 60
; AccumOffset: 60
; Occupancy: 8
; WaveLimiterHint : 1
; COMPUTE_PGM_RSRC2:SCRATCH_EN: 0
; COMPUTE_PGM_RSRC2:USER_SGPR: 6
; COMPUTE_PGM_RSRC2:TRAP_HANDLER: 0
; COMPUTE_PGM_RSRC2:TGID_X_EN: 1
; COMPUTE_PGM_RSRC2:TGID_Y_EN: 0
; COMPUTE_PGM_RSRC2:TGID_Z_EN: 0
; COMPUTE_PGM_RSRC2:TIDIG_COMP_CNT: 0
; COMPUTE_PGM_RSRC3_GFX90A:ACCUM_OFFSET: 14
; COMPUTE_PGM_RSRC3_GFX90A:TG_SPLIT: 0
	.section	.text._ZN5aiter55rope_hadamard_rotate_activation_fp4quant_inplace_kernelIDF16_Li1024ELb0ELi32EEEvPT_PKS1_S4_S4_PKliiiii,"axG",@progbits,_ZN5aiter55rope_hadamard_rotate_activation_fp4quant_inplace_kernelIDF16_Li1024ELb0ELi32EEEvPT_PKS1_S4_S4_PKliiiii,comdat
	.protected	_ZN5aiter55rope_hadamard_rotate_activation_fp4quant_inplace_kernelIDF16_Li1024ELb0ELi32EEEvPT_PKS1_S4_S4_PKliiiii ; -- Begin function _ZN5aiter55rope_hadamard_rotate_activation_fp4quant_inplace_kernelIDF16_Li1024ELb0ELi32EEEvPT_PKS1_S4_S4_PKliiiii
	.globl	_ZN5aiter55rope_hadamard_rotate_activation_fp4quant_inplace_kernelIDF16_Li1024ELb0ELi32EEEvPT_PKS1_S4_S4_PKliiiii
	.p2align	8
	.type	_ZN5aiter55rope_hadamard_rotate_activation_fp4quant_inplace_kernelIDF16_Li1024ELb0ELi32EEEvPT_PKS1_S4_S4_PKliiiii,@function
_ZN5aiter55rope_hadamard_rotate_activation_fp4quant_inplace_kernelIDF16_Li1024ELb0ELi32EEEvPT_PKS1_S4_S4_PKliiiii: ; @_ZN5aiter55rope_hadamard_rotate_activation_fp4quant_inplace_kernelIDF16_Li1024ELb0ELi32EEEvPT_PKS1_S4_S4_PKliiiii
; %bb.0:
	s_load_dwordx4 s[8:11], s[4:5], 0x28
	s_load_dwordx4 s[0:3], s[4:5], 0x0
	s_lshl_b32 s14, s6, 1
	s_mov_b32 s19, 0x20000
	v_lshlrev_b32_e32 v60, 6, v0
	s_waitcnt lgkmcnt(0)
	s_sub_i32 s6, s8, s14
	s_min_i32 s12, s6, 2
	s_mul_hi_i32 s7, s11, s14
	s_mul_i32 s6, s11, s14
	s_sub_i32 s13, 0x400, s10
	s_lshl_b64 s[6:7], s[6:7], 1
	s_add_u32 s16, s2, s6
	s_addc_u32 s2, s3, s7
	s_mul_i32 s3, s12, s11
	s_lshl_b32 s18, s3, 1
	s_and_b32 s17, s2, 0xffff
	buffer_load_dwordx4 v[14:17], v60, s[16:19], 0 offen
	buffer_load_dwordx4 v[10:13], v60, s[16:19], 16 offen
	;; [unrolled: 1-line block ×4, first 2 shown]
	v_lshrrev_b32_e32 v19, 5, v0
	v_lshlrev_b32_e32 v1, 5, v0
	v_lshlrev_b32_e32 v21, 10, v19
	v_sub_u32_e32 v1, v1, v21
	v_cmp_le_i32_e32 vcc, s13, v1
	s_waitcnt vmcnt(3)
	v_cvt_f32_f16_sdwa v41, v14 dst_sel:DWORD dst_unused:UNUSED_PAD src0_sel:WORD_1
	v_cvt_f32_f16_sdwa v40, v15 dst_sel:DWORD dst_unused:UNUSED_PAD src0_sel:WORD_1
	v_cvt_f32_f16_e32 v38, v15
	v_cvt_f32_f16_sdwa v55, v16 dst_sel:DWORD dst_unused:UNUSED_PAD src0_sel:WORD_1
	v_cvt_f32_f16_e32 v37, v16
	v_cvt_f32_f16_sdwa v54, v17 dst_sel:DWORD dst_unused:UNUSED_PAD src0_sel:WORD_1
	v_cvt_f32_f16_e32 v36, v17
	s_waitcnt vmcnt(2)
	v_cvt_f32_f16_sdwa v35, v10 dst_sel:DWORD dst_unused:UNUSED_PAD src0_sel:WORD_1
	v_cvt_f32_f16_sdwa v34, v11 dst_sel:DWORD dst_unused:UNUSED_PAD src0_sel:WORD_1
	v_cvt_f32_f16_e32 v32, v11
	v_cvt_f32_f16_sdwa v53, v12 dst_sel:DWORD dst_unused:UNUSED_PAD src0_sel:WORD_1
	v_cvt_f32_f16_e32 v31, v12
	v_cvt_f32_f16_sdwa v52, v13 dst_sel:DWORD dst_unused:UNUSED_PAD src0_sel:WORD_1
	v_cvt_f32_f16_e32 v30, v13
	;; [unrolled: 8-line block ×4, first 2 shown]
	s_and_saveexec_b64 s[2:3], vcc
	s_xor_b64 s[2:3], exec, s[2:3]
	s_cbranch_execz .LBB31_2
; %bb.1:
	v_add_u32_e32 v18, s14, v19
	s_add_i32 s11, s8, -1
	v_mov_b32_e32 v19, s11
	v_cmp_gt_i32_e32 vcc, s8, v18
	s_ff1_i32_b32 s11, s9
	s_load_dwordx2 s[8:9], s[4:5], 0x20
	s_load_dwordx4 s[16:19], s[4:5], 0x10
	v_cndmask_b32_e32 v18, v19, v18, vcc
	v_ashrrev_i32_e32 v18, s11, v18
	v_ashrrev_i32_e32 v19, 31, v18
	v_lshlrev_b64 v[18:19], 3, v[18:19]
	s_waitcnt lgkmcnt(0)
	v_mov_b32_e32 v20, s9
	v_add_co_u32_e32 v18, vcc, s8, v18
	v_addc_co_u32_e32 v19, vcc, v20, v19, vcc
	global_load_dwordx2 v[18:19], v[18:19], off
	s_lshr_b32 s4, s10, 31
	s_add_i32 s4, s10, s4
	s_ashr_i32 s4, s4, 1
	s_ashr_i32 s5, s4, 31
	v_subrev_u32_e32 v1, s13, v1
	v_lshrrev_b32_e32 v20, 31, v1
	v_add_u32_e32 v1, v1, v20
	v_ashrrev_i32_e32 v20, 1, v1
	v_mov_b32_e32 v1, s17
	v_ashrrev_i32_e32 v21, 31, v20
	v_mov_b32_e32 v22, s19
	v_lshlrev_b64 v[20:21], 1, v[20:21]
	v_cvt_f32_f16_e32 v42, v15
	v_cvt_f32_f16_e32 v46, v17
	;; [unrolled: 1-line block ×3, first 2 shown]
	v_cvt_f32_f16_sdwa v43, v15 dst_sel:DWORD dst_unused:UNUSED_PAD src0_sel:WORD_1
	v_cvt_f32_f16_sdwa v47, v17 dst_sel:DWORD dst_unused:UNUSED_PAD src0_sel:WORD_1
	v_cvt_f32_f16_e32 v48, v11
	v_cvt_f32_f16_e32 v50, v12
	;; [unrolled: 1-line block ×3, first 2 shown]
	v_cvt_f32_f16_sdwa v45, v16 dst_sel:DWORD dst_unused:UNUSED_PAD src0_sel:WORD_1
	v_cvt_f32_f16_sdwa v49, v11 dst_sel:DWORD dst_unused:UNUSED_PAD src0_sel:WORD_1
	;; [unrolled: 1-line block ×5, first 2 shown]
	v_cvt_f32_f16_e32 v54, v7
	v_cvt_f32_f16_sdwa v57, v8 dst_sel:DWORD dst_unused:UNUSED_PAD src0_sel:WORD_1
	v_cvt_f32_f16_e32 v56, v8
	v_cvt_f32_f16_sdwa v59, v9 dst_sel:DWORD dst_unused:UNUSED_PAD src0_sel:WORD_1
	;; [unrolled: 2-line block ×3, first 2 shown]
	v_cvt_f32_f16_sdwa v61, v2 dst_sel:DWORD dst_unused:UNUSED_PAD src0_sel:WORD_1
	s_waitcnt vmcnt(0)
	v_mul_lo_u32 v23, v19, s4
	v_mul_lo_u32 v24, v18, s5
	v_mad_u64_u32 v[18:19], s[4:5], v18, s4, 0
	v_add3_u32 v19, v19, v24, v23
	v_lshlrev_b64 v[18:19], 1, v[18:19]
	v_add_co_u32_e32 v23, vcc, s16, v18
	v_addc_co_u32_e32 v1, vcc, v1, v19, vcc
	v_add_co_u32_e32 v18, vcc, s18, v18
	v_addc_co_u32_e32 v19, vcc, v22, v19, vcc
	;; [unrolled: 2-line block ×4, first 2 shown]
	global_load_dwordx4 v[30:33], v[34:35], off
	global_load_dwordx4 v[26:29], v[36:37], off
	global_load_dwordx4 v[22:25], v[34:35], off offset:16
	global_load_dwordx4 v[18:21], v[36:37], off offset:16
	v_cvt_f32_f16_sdwa v1, v14 dst_sel:DWORD dst_unused:UNUSED_PAD src0_sel:WORD_1
	v_cvt_f32_f16_sdwa v34, v10 dst_sel:DWORD dst_unused:UNUSED_PAD src0_sel:WORD_1
	s_waitcnt vmcnt(3)
	v_cvt_f32_f16_e32 v35, v30
	s_waitcnt vmcnt(2)
	v_cvt_f32_f16_e32 v36, v26
	v_cvt_f32_f16_sdwa v63, v30 dst_sel:DWORD dst_unused:UNUSED_PAD src0_sel:WORD_1
	v_cvt_f32_f16_sdwa v67, v31 dst_sel:DWORD dst_unused:UNUSED_PAD src0_sel:WORD_1
	v_cvt_f32_f16_e32 v65, v31
	v_cvt_f32_f16_e32 v31, v32
	v_cvt_f32_f16_e32 v62, v28
	v_mul_f32_e32 v36, v36, v1
	v_mul_f32_e32 v1, v35, v1
	;; [unrolled: 1-line block ×4, first 2 shown]
	v_fma_mix_f32 v39, v30, v14, -v36 op_sel_hi:[1,1,0]
	v_fma_mix_f32 v38, -v15, v26, v35 op_sel:[1,1,0] op_sel_hi:[1,1,0]
	v_fma_mix_f32 v36, -v17, v27, v41 op_sel:[1,1,0] op_sel_hi:[1,1,0]
	v_cvt_f32_f16_sdwa v15, v32 dst_sel:DWORD dst_unused:UNUSED_PAD src0_sel:WORD_1
	v_fma_mix_f32 v41, v26, v14, v1 op_sel_hi:[1,1,0]
	v_cvt_f32_f16_e32 v17, v33
	v_mul_f32_e32 v14, v31, v34
	v_cvt_f32_f16_sdwa v69, v33 dst_sel:DWORD dst_unused:UNUSED_PAD src0_sel:WORD_1
	v_mul_f32_e32 v1, v62, v34
	v_fma_mix_f32 v35, v28, v10, v14 op_sel_hi:[1,1,0]
	v_cvt_f32_f16_sdwa v62, v26 dst_sel:DWORD dst_unused:UNUSED_PAD src0_sel:WORD_1
	v_cvt_f32_f16_e32 v64, v27
	v_cvt_f32_f16_sdwa v66, v27 dst_sel:DWORD dst_unused:UNUSED_PAD src0_sel:WORD_1
	v_cvt_f32_f16_sdwa v14, v28 dst_sel:DWORD dst_unused:UNUSED_PAD src0_sel:WORD_1
	v_mul_f32_e32 v37, v65, v44
	v_fma_mix_f32 v37, -v16, v27, v37 op_sel:[1,0,0] op_sel_hi:[1,1,0]
	v_fma_mix_f32 v33, v32, v10, -v1 op_sel_hi:[1,1,0]
	v_mul_f32_e32 v1, v15, v48
	v_mul_f32_e32 v16, v17, v50
	;; [unrolled: 1-line block ×3, first 2 shown]
	v_fma_mix_f32 v32, -v11, v28, v1 op_sel:[1,1,0] op_sel_hi:[1,1,0]
	v_fma_mix_f32 v31, -v12, v29, v16 op_sel:[1,0,0] op_sel_hi:[1,1,0]
	v_fma_mix_f32 v30, -v13, v29, v30 op_sel:[1,1,0] op_sel_hi:[1,1,0]
	v_cvt_f32_f16_e32 v16, v29
	v_cvt_f32_f16_sdwa v68, v29 dst_sel:DWORD dst_unused:UNUSED_PAD src0_sel:WORD_1
	v_pk_mul_f32 v[28:29], v[62:63], v[42:43]
	v_pk_mul_f32 v[44:45], v[64:65], v[44:45]
	s_waitcnt vmcnt(1)
	v_cvt_f32_f16_sdwa v43, v22 dst_sel:DWORD dst_unused:UNUSED_PAD src0_sel:WORD_1
	v_pk_mul_f32 v[64:65], v[66:67], v[46:47]
	v_cvt_f32_f16_e32 v47, v23
	s_waitcnt vmcnt(0)
	v_cvt_f32_f16_e32 v46, v19
	v_pk_mul_f32 v[14:15], v[14:15], v[48:49]
	v_cvt_f32_f16_sdwa v49, v23 dst_sel:DWORD dst_unused:UNUSED_PAD src0_sel:WORD_1
	v_cvt_f32_f16_sdwa v48, v19 dst_sel:DWORD dst_unused:UNUSED_PAD src0_sel:WORD_1
	v_cvt_f32_f16_e32 v1, v18
	v_cvt_f32_f16_sdwa v42, v18 dst_sel:DWORD dst_unused:UNUSED_PAD src0_sel:WORD_1
	v_cvt_f32_f16_sdwa v27, v5 dst_sel:DWORD dst_unused:UNUSED_PAD src0_sel:WORD_1
	v_cvt_f32_f16_e32 v26, v5
	v_cvt_f32_f16_e32 v5, v22
	v_cvt_f32_f16_sdwa v11, v3 dst_sel:DWORD dst_unused:UNUSED_PAD src0_sel:WORD_1
	v_cvt_f32_f16_e32 v10, v3
	v_cvt_f32_f16_sdwa v13, v4 dst_sel:DWORD dst_unused:UNUSED_PAD src0_sel:WORD_1
	v_pk_mul_f32 v[16:17], v[16:17], v[50:51]
	v_pk_mul_f32 v[50:51], v[68:69], v[52:53]
	v_mul_f32_e32 v23, v43, v54
	v_mul_f32_e32 v53, v47, v56
	v_pk_mul_f32 v[56:57], v[46:47], v[56:57]
	v_mul_f32_e32 v46, v49, v58
	v_pk_mul_f32 v[48:49], v[48:49], v[58:59]
	v_cvt_f32_f16_sdwa v59, v24 dst_sel:DWORD dst_unused:UNUSED_PAD src0_sel:WORD_1
	v_cvt_f32_f16_sdwa v58, v20 dst_sel:DWORD dst_unused:UNUSED_PAD src0_sel:WORD_1
	v_mul_f32_e32 v1, v1, v40
	v_cvt_f32_f16_e32 v12, v4
	v_cvt_f32_f16_e32 v34, v20
	v_pk_mul_f32 v[66:67], v[42:43], v[54:55]
	v_cvt_f32_f16_e32 v52, v24
	v_fma_mix_f32 v43, v22, v6, -v1 op_sel_hi:[1,1,0]
	v_fma_mix_f32 v42, -v7, v18, v23 op_sel:[1,1,0] op_sel_hi:[1,1,0]
	v_fma_mix_f32 v23, -v8, v19, v53 op_sel:[1,0,0] op_sel_hi:[1,1,0]
	;; [unrolled: 1-line block ×3, first 2 shown]
	v_cvt_f32_f16_e32 v9, v25
	v_cvt_f32_f16_e32 v8, v21
	v_mul_f32_e32 v5, v5, v40
	v_fma_mix_f32 v47, v18, v6, v5 op_sel_hi:[1,1,0]
	v_cvt_f32_f16_sdwa v7, v25 dst_sel:DWORD dst_unused:UNUSED_PAD src0_sel:WORD_1
	v_cvt_f32_f16_sdwa v6, v21 dst_sel:DWORD dst_unused:UNUSED_PAD src0_sel:WORD_1
	v_mov_b32_e32 v4, v13
	v_pk_mul_f32 v[18:19], v[58:59], v[10:11]
	v_mul_f32_e32 v1, v34, v61
	v_mul_f32_e32 v25, v52, v61
	v_add_f32_e32 v40, v28, v29
	v_mov_b32_e32 v18, v9
	v_pk_mul_f32 v[4:5], v[4:5], v[8:9] op_sel_hi:[0,1]
	v_pk_mul_f32 v[28:29], v[8:9], v[12:13]
	v_mov_b32_e32 v62, v27
	v_add_f32_e32 v55, v44, v45
	v_fma_mix_f32 v21, v24, v2, -v1 op_sel_hi:[1,1,0]
	v_fma_mix_f32 v44, v20, v2, v25 op_sel_hi:[1,1,0]
	v_mov_b32_e32 v2, v19
	v_pk_fma_f32 v[18:19], v[18:19], v[12:13], v[4:5] op_sel_hi:[0,1,1] neg_lo:[0,0,1] neg_hi:[0,0,1]
	v_mov_b32_e32 v4, v29
	v_add_f32_e32 v34, v14, v15
	v_mov_b32_e32 v14, v7
	v_pk_fma_f32 v[24:25], v[8:9], v[12:13], v[4:5]
	v_pk_mul_f32 v[4:5], v[62:63], v[6:7] op_sel_hi:[0,1]
	v_pk_fma_f32 v[28:29], v[14:15], v[26:27], v[4:5] op_sel_hi:[0,1,1] neg_lo:[0,0,1] neg_hi:[0,0,1]
	v_pk_mul_f32 v[4:5], v[6:7], v[26:27]
	v_add_f32_e32 v52, v50, v51
	v_add_f32_e32 v50, v48, v49
	v_pk_fma_f32 v[48:49], v[58:59], v[10:11], v[2:3]
	v_mov_b32_e32 v2, v5
	v_mul_f32_e32 v1, v59, v10
	v_add_f32_e32 v54, v64, v65
	v_add_f32_e32 v53, v16, v17
	v_add_f32_e32 v46, v66, v67
	v_add_f32_e32 v51, v56, v57
	v_pk_fma_f32 v[26:27], v[6:7], v[26:27], v[2:3]
	v_fma_mix_f32 v20, -v3, v20, v1 op_sel:[1,1,0] op_sel_hi:[1,1,0]
                                        ; implicit-def: $vgpr14_vgpr15_vgpr16_vgpr17
                                        ; implicit-def: $vgpr10_vgpr11_vgpr12_vgpr13
                                        ; implicit-def: $vgpr6_vgpr7_vgpr8_vgpr9
                                        ; implicit-def: $vgpr2_vgpr3_vgpr4_vgpr5
.LBB31_2:
	s_andn2_saveexec_b64 s[2:3], s[2:3]
; %bb.3:
	v_cvt_f32_f16_e32 v39, v14
	v_cvt_f32_f16_e32 v33, v10
	;; [unrolled: 1-line block ×4, first 2 shown]
; %bb.4:
	s_or_b64 exec, exec, s[2:3]
	v_mov_b32_e32 v8, v41
	v_mov_b32_e32 v9, v38
	;; [unrolled: 1-line block ×4, first 2 shown]
	v_pk_add_f32 v[2:3], v[38:39], v[40:41]
	v_pk_add_f32 v[4:5], v[38:39], v[40:41] neg_lo:[0,1] neg_hi:[0,1]
	v_pk_add_f32 v[6:7], v[8:9], v[10:11]
	v_pk_add_f32 v[8:9], v[8:9], v[10:11] neg_lo:[0,1] neg_hi:[0,1]
	v_pk_add_f32 v[10:11], v[36:37], v[54:55]
	v_pk_add_f32 v[12:13], v[36:37], v[54:55] neg_lo:[0,1] neg_hi:[0,1]
	v_mov_b32_e32 v16, v55
	v_mov_b32_e32 v17, v36
	;; [unrolled: 1-line block ×8, first 2 shown]
	v_pk_add_f32 v[14:15], v[16:17], v[36:37]
	v_pk_add_f32 v[16:17], v[16:17], v[36:37] neg_lo:[0,1] neg_hi:[0,1]
	v_pk_add_f32 v[36:37], v[32:33], v[34:35]
	v_pk_add_f32 v[38:39], v[32:33], v[34:35] neg_lo:[0,1] neg_hi:[0,1]
	;; [unrolled: 2-line block ×3, first 2 shown]
	v_mov_b32_e32 v54, v53
	v_mov_b32_e32 v55, v30
	v_pk_add_f32 v[40:41], v[30:31], v[52:53]
	v_pk_add_f32 v[56:57], v[30:31], v[52:53] neg_lo:[0,1] neg_hi:[0,1]
	v_mov_b32_e32 v30, v31
	v_mov_b32_e32 v31, v52
	v_pk_add_f32 v[52:53], v[54:55], v[30:31]
	v_pk_add_f32 v[30:31], v[54:55], v[30:31] neg_lo:[0,1] neg_hi:[0,1]
	;; [unrolled: 4-line block ×5, first 2 shown]
	v_mov_b32_e32 v22, v23
	v_mov_b32_e32 v23, v50
	;; [unrolled: 1-line block ×3, first 2 shown]
	v_pk_add_f32 v[50:51], v[54:55], v[22:23]
	v_pk_add_f32 v[22:23], v[54:55], v[22:23] neg_lo:[0,1] neg_hi:[0,1]
	v_mov_b32_e32 v45, v20
	v_pk_add_f32 v[54:55], v[20:21], v[48:49]
	v_pk_add_f32 v[68:69], v[20:21], v[48:49] neg_lo:[0,1] neg_hi:[0,1]
	v_mov_b32_e32 v20, v21
	v_mov_b32_e32 v21, v48
	;; [unrolled: 1-line block ×6, first 2 shown]
	v_pk_add_f32 v[48:49], v[44:45], v[20:21]
	v_pk_add_f32 v[20:21], v[44:45], v[20:21] neg_lo:[0,1] neg_hi:[0,1]
	v_pk_add_f32 v[44:45], v[28:29], v[26:27]
	v_pk_add_f32 v[28:29], v[28:29], v[26:27] neg_lo:[0,1] neg_hi:[0,1]
	;; [unrolled: 2-line block ×3, first 2 shown]
	v_mov_b32_e32 v3, v5
	v_mov_b32_e32 v7, v9
	;; [unrolled: 1-line block ×16, first 2 shown]
	v_pk_add_f32 v[70:71], v[6:7], v[2:3]
	v_pk_add_f32 v[72:73], v[14:15], v[10:11]
	;; [unrolled: 1-line block ×8, first 2 shown]
	v_mov_b32_e32 v7, v5
	v_mov_b32_e32 v3, v9
	;; [unrolled: 1-line block ×16, first 2 shown]
	v_pk_add_f32 v[86:87], v[70:71], v[72:73]
	v_pk_add_f32 v[88:89], v[74:75], v[76:77]
	;; [unrolled: 1-line block ×4, first 2 shown]
	v_pk_add_f32 v[2:3], v[6:7], v[2:3] neg_lo:[0,1] neg_hi:[0,1]
	v_pk_add_f32 v[4:5], v[14:15], v[10:11] neg_lo:[0,1] neg_hi:[0,1]
	;; [unrolled: 1-line block ×8, first 2 shown]
	v_pk_add_f32 v[18:19], v[86:87], v[88:89]
	v_pk_add_f32 v[94:95], v[90:91], v[92:93]
	;; [unrolled: 1-line block ×6, first 2 shown]
	v_pk_add_f32 v[2:3], v[2:3], v[4:5] neg_lo:[0,1] neg_hi:[0,1]
	v_pk_add_f32 v[4:5], v[6:7], v[8:9] neg_lo:[0,1] neg_hi:[0,1]
	;; [unrolled: 1-line block ×4, first 2 shown]
	v_pk_add_f32 v[96:97], v[18:19], v[94:95]
	v_pk_add_f32 v[28:29], v[20:21], v[22:23]
	;; [unrolled: 1-line block ×4, first 2 shown]
	v_pk_add_f32 v[2:3], v[2:3], v[4:5] neg_lo:[0,1] neg_hi:[0,1]
	v_pk_add_f32 v[4:5], v[6:7], v[8:9] neg_lo:[0,1] neg_hi:[0,1]
	v_and_b32_e32 v1, 1, v0
	v_pk_add_f32 v[32:33], v[28:29], v[30:31]
	v_pk_add_f32 v[28:29], v[28:29], v[30:31] neg_lo:[0,1] neg_hi:[0,1]
	v_pk_add_f32 v[30:31], v[70:71], v[72:73] neg_lo:[0,1] neg_hi:[0,1]
	;; [unrolled: 1-line block ×5, first 2 shown]
	v_pk_add_f32 v[12:13], v[6:7], v[8:9]
	v_pk_add_f32 v[6:7], v[2:3], v[4:5]
	v_pk_add_f32 v[2:3], v[2:3], v[4:5] neg_lo:[0,1] neg_hi:[0,1]
	v_sub_f32_dpp v4, v96, v96 quad_perm:[1,0,3,2] row_mask:0xf bank_mask:0xf bound_ctrl:1
	v_add_f32_dpp v5, v96, v96 quad_perm:[1,0,3,2] row_mask:0xf bank_mask:0xf bound_ctrl:1
	v_cmp_eq_u32_e32 vcc, 0, v1
	v_pk_add_f32 v[40:41], v[30:31], v[34:35]
	v_pk_add_f32 v[42:43], v[36:37], v[38:39]
	;; [unrolled: 1-line block ×3, first 2 shown]
	v_pk_add_f32 v[10:11], v[10:11], v[12:13] neg_lo:[0,1] neg_hi:[0,1]
	v_pk_add_f32 v[12:13], v[86:87], v[88:89] neg_lo:[0,1] neg_hi:[0,1]
	v_pk_add_f32 v[16:17], v[90:91], v[92:93] neg_lo:[0,1] neg_hi:[0,1]
	v_cndmask_b32_e32 v1, v4, v5, vcc
	v_sub_f32_dpp v4, v97, v97 quad_perm:[1,0,3,2] row_mask:0xf bank_mask:0xf bound_ctrl:1
	v_add_f32_dpp v5, v97, v97 quad_perm:[1,0,3,2] row_mask:0xf bank_mask:0xf bound_ctrl:1
	v_pk_add_f32 v[44:45], v[40:41], v[42:43]
	v_pk_add_f32 v[40:41], v[40:41], v[42:43] neg_lo:[0,1] neg_hi:[0,1]
	v_pk_add_f32 v[42:43], v[12:13], v[16:17]
	v_pk_add_f32 v[12:13], v[12:13], v[16:17] neg_lo:[0,1] neg_hi:[0,1]
	v_pk_add_f32 v[16:17], v[20:21], v[22:23] neg_lo:[0,1] neg_hi:[0,1]
	;; [unrolled: 1-line block ×3, first 2 shown]
	v_cndmask_b32_e32 v4, v4, v5, vcc
	v_sub_f32_dpp v5, v32, v32 quad_perm:[1,0,3,2] row_mask:0xf bank_mask:0xf bound_ctrl:1
	v_add_f32_dpp v8, v32, v32 quad_perm:[1,0,3,2] row_mask:0xf bank_mask:0xf bound_ctrl:1
	v_pk_add_f32 v[22:23], v[16:17], v[20:21]
	v_pk_add_f32 v[16:17], v[16:17], v[20:21] neg_lo:[0,1] neg_hi:[0,1]
	v_pk_add_f32 v[20:21], v[30:31], v[34:35] neg_lo:[0,1] neg_hi:[0,1]
	;; [unrolled: 1-line block ×3, first 2 shown]
	v_cndmask_b32_e32 v5, v5, v8, vcc
	v_sub_f32_dpp v8, v33, v33 quad_perm:[1,0,3,2] row_mask:0xf bank_mask:0xf bound_ctrl:1
	v_add_f32_dpp v9, v33, v33 quad_perm:[1,0,3,2] row_mask:0xf bank_mask:0xf bound_ctrl:1
	v_pk_add_f32 v[26:27], v[20:21], v[24:25]
	v_pk_add_f32 v[20:21], v[20:21], v[24:25] neg_lo:[0,1] neg_hi:[0,1]
	v_cndmask_b32_e32 v8, v8, v9, vcc
	v_sub_f32_dpp v9, v44, v44 quad_perm:[1,0,3,2] row_mask:0xf bank_mask:0xf bound_ctrl:1
	v_add_f32_dpp v24, v44, v44 quad_perm:[1,0,3,2] row_mask:0xf bank_mask:0xf bound_ctrl:1
	v_cndmask_b32_e32 v9, v9, v24, vcc
	v_add_f32_dpp v25, v45, v45 quad_perm:[1,0,3,2] row_mask:0xf bank_mask:0xf bound_ctrl:1
	v_sub_f32_dpp v24, v45, v45 quad_perm:[1,0,3,2] row_mask:0xf bank_mask:0xf bound_ctrl:1
	v_cndmask_b32_e32 v24, v24, v25, vcc
	v_sub_f32_dpp v25, v14, v14 quad_perm:[1,0,3,2] row_mask:0xf bank_mask:0xf bound_ctrl:1
	v_add_f32_dpp v14, v14, v14 quad_perm:[1,0,3,2] row_mask:0xf bank_mask:0xf bound_ctrl:1
	v_cndmask_b32_e32 v14, v25, v14, vcc
	v_sub_f32_dpp v25, v15, v15 quad_perm:[1,0,3,2] row_mask:0xf bank_mask:0xf bound_ctrl:1
	v_add_f32_dpp v15, v15, v15 quad_perm:[1,0,3,2] row_mask:0xf bank_mask:0xf bound_ctrl:1
	;; [unrolled: 3-line block ×3, first 2 shown]
	v_cndmask_b32_e32 v25, v25, v30, vcc
	v_add_f32_dpp v31, v43, v43 quad_perm:[1,0,3,2] row_mask:0xf bank_mask:0xf bound_ctrl:1
	v_sub_f32_dpp v30, v43, v43 quad_perm:[1,0,3,2] row_mask:0xf bank_mask:0xf bound_ctrl:1
	v_cndmask_b32_e32 v30, v30, v31, vcc
	v_sub_f32_dpp v31, v22, v22 quad_perm:[1,0,3,2] row_mask:0xf bank_mask:0xf bound_ctrl:1
	v_add_f32_dpp v22, v22, v22 quad_perm:[1,0,3,2] row_mask:0xf bank_mask:0xf bound_ctrl:1
	v_cndmask_b32_e32 v22, v31, v22, vcc
	v_sub_f32_dpp v31, v23, v23 quad_perm:[1,0,3,2] row_mask:0xf bank_mask:0xf bound_ctrl:1
	v_add_f32_dpp v23, v23, v23 quad_perm:[1,0,3,2] row_mask:0xf bank_mask:0xf bound_ctrl:1
	;; [unrolled: 3-line block ×5, first 2 shown]
	v_pk_add_f32 v[18:19], v[18:19], v[94:95] neg_lo:[0,1] neg_hi:[0,1]
	v_cndmask_b32_e32 v6, v31, v6, vcc
	v_sub_f32_dpp v31, v7, v7 quad_perm:[1,0,3,2] row_mask:0xf bank_mask:0xf bound_ctrl:1
	v_add_f32_dpp v7, v7, v7 quad_perm:[1,0,3,2] row_mask:0xf bank_mask:0xf bound_ctrl:1
	v_cndmask_b32_e32 v7, v31, v7, vcc
	v_sub_f32_dpp v31, v18, v18 quad_perm:[1,0,3,2] row_mask:0xf bank_mask:0xf bound_ctrl:1
	v_add_f32_dpp v18, v18, v18 quad_perm:[1,0,3,2] row_mask:0xf bank_mask:0xf bound_ctrl:1
	;; [unrolled: 3-line block ×6, first 2 shown]
	v_cndmask_b32_e32 v31, v31, v32, vcc
	v_add_f32_dpp v33, v41, v41 quad_perm:[1,0,3,2] row_mask:0xf bank_mask:0xf bound_ctrl:1
	v_sub_f32_dpp v32, v41, v41 quad_perm:[1,0,3,2] row_mask:0xf bank_mask:0xf bound_ctrl:1
	v_cndmask_b32_e32 v32, v32, v33, vcc
	v_sub_f32_dpp v33, v10, v10 quad_perm:[1,0,3,2] row_mask:0xf bank_mask:0xf bound_ctrl:1
	v_add_f32_dpp v10, v10, v10 quad_perm:[1,0,3,2] row_mask:0xf bank_mask:0xf bound_ctrl:1
	v_cndmask_b32_e32 v10, v33, v10, vcc
	v_sub_f32_dpp v33, v11, v11 quad_perm:[1,0,3,2] row_mask:0xf bank_mask:0xf bound_ctrl:1
	v_add_f32_dpp v11, v11, v11 quad_perm:[1,0,3,2] row_mask:0xf bank_mask:0xf bound_ctrl:1
	;; [unrolled: 3-line block ×10, first 2 shown]
	v_cndmask_b32_e32 v3, v33, v3, vcc
	v_and_b32_e32 v33, 2, v0
	v_cmp_eq_u32_e32 vcc, 0, v33
	v_sub_f32_dpp v34, v1, v1 quad_perm:[2,3,0,1] row_mask:0xf bank_mask:0xf bound_ctrl:1
	v_sub_f32_dpp v33, v4, v4 quad_perm:[2,3,0,1] row_mask:0xf bank_mask:0xf bound_ctrl:1
	v_add_f32_dpp v4, v4, v4 quad_perm:[2,3,0,1] row_mask:0xf bank_mask:0xf bound_ctrl:1
	v_cndmask_b32_e32 v4, v33, v4, vcc
	v_sub_f32_dpp v33, v5, v5 quad_perm:[2,3,0,1] row_mask:0xf bank_mask:0xf bound_ctrl:1
	v_add_f32_dpp v5, v5, v5 quad_perm:[2,3,0,1] row_mask:0xf bank_mask:0xf bound_ctrl:1
	v_cndmask_b32_e32 v5, v33, v5, vcc
	;; [unrolled: 3-line block ×28, first 2 shown]
	v_sub_f32_dpp v33, v21, v21 quad_perm:[2,3,0,1] row_mask:0xf bank_mask:0xf bound_ctrl:1
	v_add_f32_dpp v21, v21, v21 quad_perm:[2,3,0,1] row_mask:0xf bank_mask:0xf bound_ctrl:1
	v_add_f32_dpp v1, v1, v1 quad_perm:[2,3,0,1] row_mask:0xf bank_mask:0xf bound_ctrl:1
	v_cndmask_b32_e32 v21, v33, v21, vcc
	v_sub_f32_dpp v33, v2, v2 quad_perm:[2,3,0,1] row_mask:0xf bank_mask:0xf bound_ctrl:1
	v_add_f32_dpp v2, v2, v2 quad_perm:[2,3,0,1] row_mask:0xf bank_mask:0xf bound_ctrl:1
	v_cndmask_b32_e32 v1, v34, v1, vcc
	v_cndmask_b32_e32 v2, v33, v2, vcc
	v_sub_f32_dpp v33, v3, v3 quad_perm:[2,3,0,1] row_mask:0xf bank_mask:0xf bound_ctrl:1
	v_add_f32_dpp v3, v3, v3 quad_perm:[2,3,0,1] row_mask:0xf bank_mask:0xf bound_ctrl:1
	v_cndmask_b32_e32 v3, v33, v3, vcc
	v_mov_b32_dpp v33, v1 row_shl:4 row_mask:0xf bank_mask:0x5 bound_ctrl:1
	v_and_b32_e32 v34, 4, v0
	v_cmp_eq_u32_e32 vcc, 0, v34
	v_mov_b32_dpp v33, v1 row_shr:4 row_mask:0xf bank_mask:0xa bound_ctrl:1
	v_sub_f32_e32 v35, v33, v1
	v_add_f32_e32 v1, v1, v33
	v_mov_b32_dpp v33, v4 row_shl:4 row_mask:0xf bank_mask:0x5 bound_ctrl:1
	v_cndmask_b32_e32 v1, v35, v1, vcc
	s_mov_b32 s4, 0x3d000000
	v_mov_b32_dpp v33, v4 row_shr:4 row_mask:0xf bank_mask:0xa bound_ctrl:1
	v_sub_f32_e32 v34, v33, v4
	v_add_f32_e32 v4, v4, v33
	v_mov_b32_dpp v33, v5 row_shl:4 row_mask:0xf bank_mask:0x5 bound_ctrl:1
	v_cndmask_b32_e32 v4, v34, v4, vcc
	s_add_u32 s0, s0, s6
	v_mov_b32_dpp v33, v5 row_shr:4 row_mask:0xf bank_mask:0xa bound_ctrl:1
	v_sub_f32_e32 v34, v33, v5
	v_add_f32_e32 v5, v5, v33
	v_mov_b32_dpp v33, v8 row_shl:4 row_mask:0xf bank_mask:0x5 bound_ctrl:1
	v_cndmask_b32_e32 v5, v34, v5, vcc
	s_addc_u32 s1, s1, s7
	v_mov_b32_dpp v33, v8 row_shr:4 row_mask:0xf bank_mask:0xa bound_ctrl:1
	v_sub_f32_e32 v34, v33, v8
	v_add_f32_e32 v8, v8, v33
	v_mov_b32_dpp v33, v9 row_shl:4 row_mask:0xf bank_mask:0x5 bound_ctrl:1
	v_cndmask_b32_e32 v8, v34, v8, vcc
	s_lshl_b32 s2, s12, 11
	v_mov_b32_dpp v33, v9 row_shr:4 row_mask:0xf bank_mask:0xa bound_ctrl:1
	v_sub_f32_e32 v34, v33, v9
	v_add_f32_e32 v9, v9, v33
	v_mov_b32_dpp v33, v24 row_shl:4 row_mask:0xf bank_mask:0x5 bound_ctrl:1
	v_cndmask_b32_e32 v9, v34, v9, vcc
	s_and_b32 s1, s1, 0xffff
	v_mov_b32_dpp v33, v24 row_shr:4 row_mask:0xf bank_mask:0xa bound_ctrl:1
	v_sub_f32_e32 v34, v33, v24
	v_add_f32_e32 v24, v24, v33
	v_mov_b32_dpp v33, v14 row_shl:4 row_mask:0xf bank_mask:0x5 bound_ctrl:1
	v_cndmask_b32_e32 v24, v34, v24, vcc
	s_mov_b32 s3, 0x20000
	v_mov_b32_dpp v33, v14 row_shr:4 row_mask:0xf bank_mask:0xa bound_ctrl:1
	v_sub_f32_e32 v34, v33, v14
	v_add_f32_e32 v14, v14, v33
	v_mov_b32_dpp v33, v15 row_shl:4 row_mask:0xf bank_mask:0x5 bound_ctrl:1
	v_cndmask_b32_e32 v14, v34, v14, vcc
	s_nop 0
	v_mov_b32_dpp v33, v15 row_shr:4 row_mask:0xf bank_mask:0xa bound_ctrl:1
	v_sub_f32_e32 v34, v33, v15
	v_add_f32_e32 v15, v15, v33
	v_mov_b32_dpp v33, v25 row_shl:4 row_mask:0xf bank_mask:0x5 bound_ctrl:1
	v_cndmask_b32_e32 v15, v34, v15, vcc
	s_nop 0
	v_mov_b32_dpp v33, v25 row_shr:4 row_mask:0xf bank_mask:0xa bound_ctrl:1
	v_sub_f32_e32 v34, v33, v25
	v_add_f32_e32 v25, v25, v33
	v_mov_b32_dpp v33, v30 row_shl:4 row_mask:0xf bank_mask:0x5 bound_ctrl:1
	v_cndmask_b32_e32 v25, v34, v25, vcc
	s_nop 0
	v_mov_b32_dpp v33, v30 row_shr:4 row_mask:0xf bank_mask:0xa bound_ctrl:1
	v_sub_f32_e32 v34, v33, v30
	v_add_f32_e32 v30, v30, v33
	v_mov_b32_dpp v33, v22 row_shl:4 row_mask:0xf bank_mask:0x5 bound_ctrl:1
	v_cndmask_b32_e32 v30, v34, v30, vcc
	s_nop 0
	v_mov_b32_dpp v33, v22 row_shr:4 row_mask:0xf bank_mask:0xa bound_ctrl:1
	v_sub_f32_e32 v34, v33, v22
	v_add_f32_e32 v22, v22, v33
	v_mov_b32_dpp v33, v23 row_shl:4 row_mask:0xf bank_mask:0x5 bound_ctrl:1
	v_cndmask_b32_e32 v22, v34, v22, vcc
	s_nop 0
	v_mov_b32_dpp v33, v23 row_shr:4 row_mask:0xf bank_mask:0xa bound_ctrl:1
	v_sub_f32_e32 v34, v33, v23
	v_add_f32_e32 v23, v23, v33
	v_mov_b32_dpp v33, v26 row_shl:4 row_mask:0xf bank_mask:0x5 bound_ctrl:1
	v_cndmask_b32_e32 v23, v34, v23, vcc
	s_nop 0
	v_mov_b32_dpp v33, v26 row_shr:4 row_mask:0xf bank_mask:0xa bound_ctrl:1
	v_sub_f32_e32 v34, v33, v26
	v_add_f32_e32 v26, v26, v33
	v_mov_b32_dpp v33, v27 row_shl:4 row_mask:0xf bank_mask:0x5 bound_ctrl:1
	v_cndmask_b32_e32 v26, v34, v26, vcc
	s_nop 0
	v_mov_b32_dpp v33, v27 row_shr:4 row_mask:0xf bank_mask:0xa bound_ctrl:1
	v_sub_f32_e32 v34, v33, v27
	v_add_f32_e32 v27, v27, v33
	v_mov_b32_dpp v33, v6 row_shl:4 row_mask:0xf bank_mask:0x5 bound_ctrl:1
	v_cndmask_b32_e32 v27, v34, v27, vcc
	s_nop 0
	v_mov_b32_dpp v33, v6 row_shr:4 row_mask:0xf bank_mask:0xa bound_ctrl:1
	v_sub_f32_e32 v34, v33, v6
	v_add_f32_e32 v6, v6, v33
	v_mov_b32_dpp v33, v7 row_shl:4 row_mask:0xf bank_mask:0x5 bound_ctrl:1
	v_cndmask_b32_e32 v6, v34, v6, vcc
	s_nop 0
	v_mov_b32_dpp v33, v7 row_shr:4 row_mask:0xf bank_mask:0xa bound_ctrl:1
	v_sub_f32_e32 v34, v33, v7
	v_add_f32_e32 v7, v7, v33
	v_mov_b32_dpp v33, v18 row_shl:4 row_mask:0xf bank_mask:0x5 bound_ctrl:1
	v_cndmask_b32_e32 v7, v34, v7, vcc
	s_nop 0
	v_mov_b32_dpp v33, v18 row_shr:4 row_mask:0xf bank_mask:0xa bound_ctrl:1
	v_sub_f32_e32 v34, v33, v18
	v_add_f32_e32 v18, v18, v33
	v_mov_b32_dpp v33, v19 row_shl:4 row_mask:0xf bank_mask:0x5 bound_ctrl:1
	v_cndmask_b32_e32 v18, v34, v18, vcc
	s_nop 0
	v_mov_b32_dpp v33, v19 row_shr:4 row_mask:0xf bank_mask:0xa bound_ctrl:1
	v_sub_f32_e32 v34, v33, v19
	v_add_f32_e32 v19, v19, v33
	v_mov_b32_dpp v33, v28 row_shl:4 row_mask:0xf bank_mask:0x5 bound_ctrl:1
	v_cndmask_b32_e32 v19, v34, v19, vcc
	s_nop 0
	v_mov_b32_dpp v33, v28 row_shr:4 row_mask:0xf bank_mask:0xa bound_ctrl:1
	v_sub_f32_e32 v34, v33, v28
	v_add_f32_e32 v28, v28, v33
	v_mov_b32_dpp v33, v29 row_shl:4 row_mask:0xf bank_mask:0x5 bound_ctrl:1
	v_cndmask_b32_e32 v28, v34, v28, vcc
	s_nop 0
	v_mov_b32_dpp v33, v29 row_shr:4 row_mask:0xf bank_mask:0xa bound_ctrl:1
	v_sub_f32_e32 v34, v33, v29
	v_add_f32_e32 v29, v29, v33
	v_mov_b32_dpp v33, v31 row_shl:4 row_mask:0xf bank_mask:0x5 bound_ctrl:1
	v_cndmask_b32_e32 v29, v34, v29, vcc
	s_nop 0
	v_mov_b32_dpp v33, v31 row_shr:4 row_mask:0xf bank_mask:0xa bound_ctrl:1
	v_sub_f32_e32 v34, v33, v31
	v_add_f32_e32 v31, v31, v33
	v_mov_b32_dpp v33, v32 row_shl:4 row_mask:0xf bank_mask:0x5 bound_ctrl:1
	v_cndmask_b32_e32 v31, v34, v31, vcc
	s_nop 0
	v_mov_b32_dpp v33, v32 row_shr:4 row_mask:0xf bank_mask:0xa bound_ctrl:1
	v_sub_f32_e32 v34, v33, v32
	v_add_f32_e32 v32, v32, v33
	v_mov_b32_dpp v33, v10 row_shl:4 row_mask:0xf bank_mask:0x5 bound_ctrl:1
	v_cndmask_b32_e32 v32, v34, v32, vcc
	s_nop 0
	v_mov_b32_dpp v33, v10 row_shr:4 row_mask:0xf bank_mask:0xa bound_ctrl:1
	v_sub_f32_e32 v34, v33, v10
	v_add_f32_e32 v10, v10, v33
	v_mov_b32_dpp v33, v11 row_shl:4 row_mask:0xf bank_mask:0x5 bound_ctrl:1
	v_cndmask_b32_e32 v10, v34, v10, vcc
	s_nop 0
	v_mov_b32_dpp v33, v11 row_shr:4 row_mask:0xf bank_mask:0xa bound_ctrl:1
	v_sub_f32_e32 v34, v33, v11
	v_add_f32_e32 v11, v11, v33
	v_mov_b32_dpp v33, v12 row_shl:4 row_mask:0xf bank_mask:0x5 bound_ctrl:1
	v_cndmask_b32_e32 v11, v34, v11, vcc
	s_nop 0
	v_mov_b32_dpp v33, v12 row_shr:4 row_mask:0xf bank_mask:0xa bound_ctrl:1
	v_sub_f32_e32 v34, v33, v12
	v_add_f32_e32 v12, v12, v33
	v_mov_b32_dpp v33, v13 row_shl:4 row_mask:0xf bank_mask:0x5 bound_ctrl:1
	v_cndmask_b32_e32 v12, v34, v12, vcc
	s_nop 0
	v_mov_b32_dpp v33, v13 row_shr:4 row_mask:0xf bank_mask:0xa bound_ctrl:1
	v_sub_f32_e32 v34, v33, v13
	v_add_f32_e32 v13, v13, v33
	v_mov_b32_dpp v33, v16 row_shl:4 row_mask:0xf bank_mask:0x5 bound_ctrl:1
	v_cndmask_b32_e32 v13, v34, v13, vcc
	s_nop 0
	v_mov_b32_dpp v33, v16 row_shr:4 row_mask:0xf bank_mask:0xa bound_ctrl:1
	v_sub_f32_e32 v34, v33, v16
	v_add_f32_e32 v16, v16, v33
	v_mov_b32_dpp v33, v17 row_shl:4 row_mask:0xf bank_mask:0x5 bound_ctrl:1
	v_cndmask_b32_e32 v16, v34, v16, vcc
	s_nop 0
	v_mov_b32_dpp v33, v17 row_shr:4 row_mask:0xf bank_mask:0xa bound_ctrl:1
	v_sub_f32_e32 v34, v33, v17
	v_add_f32_e32 v17, v17, v33
	v_mov_b32_dpp v33, v20 row_shl:4 row_mask:0xf bank_mask:0x5 bound_ctrl:1
	v_cndmask_b32_e32 v17, v34, v17, vcc
	s_nop 0
	v_mov_b32_dpp v33, v20 row_shr:4 row_mask:0xf bank_mask:0xa bound_ctrl:1
	v_sub_f32_e32 v34, v33, v20
	v_add_f32_e32 v20, v20, v33
	v_mov_b32_dpp v33, v21 row_shl:4 row_mask:0xf bank_mask:0x5 bound_ctrl:1
	v_cndmask_b32_e32 v20, v34, v20, vcc
	s_nop 0
	v_mov_b32_dpp v33, v21 row_shr:4 row_mask:0xf bank_mask:0xa bound_ctrl:1
	v_sub_f32_e32 v34, v33, v21
	v_add_f32_e32 v21, v21, v33
	v_mov_b32_dpp v33, v2 row_shl:4 row_mask:0xf bank_mask:0x5 bound_ctrl:1
	v_cndmask_b32_e32 v21, v34, v21, vcc
	s_nop 0
	v_mov_b32_dpp v33, v2 row_shr:4 row_mask:0xf bank_mask:0xa bound_ctrl:1
	v_sub_f32_e32 v34, v33, v2
	v_add_f32_e32 v2, v2, v33
	v_mov_b32_dpp v33, v3 row_shl:4 row_mask:0xf bank_mask:0x5 bound_ctrl:1
	v_cndmask_b32_e32 v2, v34, v2, vcc
	s_nop 0
	v_mov_b32_dpp v33, v3 row_shr:4 row_mask:0xf bank_mask:0xa bound_ctrl:1
	v_sub_f32_e32 v34, v33, v3
	v_add_f32_e32 v3, v3, v33
	v_and_b32_e32 v33, 8, v0
	v_cndmask_b32_e32 v3, v34, v3, vcc
	v_cmp_eq_u32_e32 vcc, 0, v33
	v_sub_f32_dpp v33, v4, v4 row_ror:8 row_mask:0xf bank_mask:0xf bound_ctrl:1
	v_add_f32_dpp v4, v4, v4 row_ror:8 row_mask:0xf bank_mask:0xf bound_ctrl:1
	v_cndmask_b32_e32 v4, v33, v4, vcc
	v_sub_f32_dpp v33, v5, v5 row_ror:8 row_mask:0xf bank_mask:0xf bound_ctrl:1
	v_add_f32_dpp v5, v5, v5 row_ror:8 row_mask:0xf bank_mask:0xf bound_ctrl:1
	v_cndmask_b32_e32 v5, v33, v5, vcc
	;; [unrolled: 3-line block ×13, first 2 shown]
	v_sub_f32_dpp v33, v6, v6 row_ror:8 row_mask:0xf bank_mask:0xf bound_ctrl:1
	v_add_f32_dpp v6, v6, v6 row_ror:8 row_mask:0xf bank_mask:0xf bound_ctrl:1
	v_sub_f32_dpp v34, v1, v1 row_ror:8 row_mask:0xf bank_mask:0xf bound_ctrl:1
	v_add_f32_dpp v1, v1, v1 row_ror:8 row_mask:0xf bank_mask:0xf bound_ctrl:1
	v_cndmask_b32_e32 v33, v33, v6, vcc
	v_sub_f32_dpp v6, v7, v7 row_ror:8 row_mask:0xf bank_mask:0xf bound_ctrl:1
	v_add_f32_dpp v7, v7, v7 row_ror:8 row_mask:0xf bank_mask:0xf bound_ctrl:1
	v_cndmask_b32_e32 v1, v34, v1, vcc
	v_cndmask_b32_e32 v34, v6, v7, vcc
	v_sub_f32_dpp v6, v18, v18 row_ror:8 row_mask:0xf bank_mask:0xf bound_ctrl:1
	v_add_f32_dpp v7, v18, v18 row_ror:8 row_mask:0xf bank_mask:0xf bound_ctrl:1
	v_cndmask_b32_e32 v18, v6, v7, vcc
	v_sub_f32_dpp v6, v19, v19 row_ror:8 row_mask:0xf bank_mask:0xf bound_ctrl:1
	v_add_f32_dpp v7, v19, v19 row_ror:8 row_mask:0xf bank_mask:0xf bound_ctrl:1
	;; [unrolled: 3-line block ×15, first 2 shown]
	v_cndmask_b32_e32 v43, v6, v2, vcc
	v_mbcnt_lo_u32_b32 v2, -1, 0
	v_mbcnt_hi_u32_b32 v2, -1, v2
	v_lshlrev_b32_e32 v2, 2, v2
	v_xor_b32_e32 v44, 64, v2
	ds_bpermute_b32 v2, v44, v1
	v_sub_f32_dpp v6, v3, v3 row_ror:8 row_mask:0xf bank_mask:0xf bound_ctrl:1
	v_add_f32_dpp v3, v3, v3 row_ror:8 row_mask:0xf bank_mask:0xf bound_ctrl:1
	v_and_b32_e32 v0, 16, v0
	v_cndmask_b32_e32 v45, v6, v3, vcc
	s_waitcnt lgkmcnt(0)
	v_sub_f32_e32 v3, v2, v1
	ds_bpermute_b32 v6, v44, v4
	v_add_f32_e32 v1, v1, v2
	v_cmp_eq_u32_e32 vcc, 0, v0
	v_cndmask_b32_e32 v46, v3, v1, vcc
	ds_bpermute_b32 v1, v44, v5
	s_waitcnt lgkmcnt(1)
	v_sub_f32_e32 v0, v6, v4
	v_add_f32_e32 v2, v4, v6
	v_cndmask_b32_e32 v0, v0, v2, vcc
	ds_bpermute_b32 v2, v44, v8
	s_waitcnt lgkmcnt(1)
	v_sub_f32_e32 v3, v1, v5
	v_add_f32_e32 v1, v5, v1
	;; [unrolled: 5-line block ×28, first 2 shown]
	v_cndmask_b32_e32 v21, v23, v21, vcc
	ds_bpermute_b32 v23, v44, v43
	ds_bpermute_b32 v31, v44, v45
	v_pk_mul_f32 v[0:1], v[0:1], s[4:5] op_sel_hi:[1,0]
	v_pk_mul_f32 v[2:3], v[2:3], s[4:5] op_sel_hi:[1,0]
	;; [unrolled: 1-line block ×3, first 2 shown]
	s_waitcnt lgkmcnt(2)
	v_sub_f32_e32 v30, v22, v42
	v_add_f32_e32 v22, v42, v22
	v_cvt_f16_f32_e32 v1, v1
	v_cvt_f16_f32_e32 v32, v3
	;; [unrolled: 1-line block ×6, first 2 shown]
	v_cndmask_b32_e32 v22, v30, v22, vcc
	s_waitcnt lgkmcnt(1)
	v_sub_f32_e32 v30, v23, v43
	v_add_f32_e32 v23, v43, v23
	v_cndmask_b32_e32 v23, v30, v23, vcc
	s_waitcnt lgkmcnt(0)
	v_sub_f32_e32 v30, v31, v45
	v_add_f32_e32 v31, v45, v31
	v_cndmask_b32_e32 v30, v30, v31, vcc
	v_fma_mixlo_f16 v31, v46, s4, 0
	v_pack_b32_f16 v2, v32, v4
	v_pack_b32_f16 v1, v1, v33
	;; [unrolled: 1-line block ×3, first 2 shown]
	v_fma_mixhi_f16 v3, v24, s4, 0
	buffer_store_dwordx4 v[0:3], v60, s[0:3], 0 offen
	v_pk_mul_f32 v[4:5], v[10:11], s[4:5] op_sel_hi:[1,0]
	v_pk_mul_f32 v[0:1], v[6:7], s[4:5] op_sel_hi:[1,0]
	v_pk_mul_f32 v[2:3], v[8:9], s[4:5] op_sel_hi:[1,0]
	v_cvt_f16_f32_e32 v1, v1
	v_cvt_f16_f32_e32 v6, v3
	v_cvt_f16_f32_e32 v4, v4
	v_cvt_f16_f32_e32 v7, v2
	v_cvt_f16_f32_e32 v0, v0
	v_cvt_f16_f32_e32 v3, v5
	v_fma_mixlo_f16 v24, v25, s4, 0
	v_pack_b32_f16 v2, v6, v4
	v_pack_b32_f16 v1, v1, v7
	v_pack_b32_f16 v0, v24, v0
	v_fma_mixhi_f16 v3, v26, s4, 0
	;;#ASMSTART
	s_nop 0
	;;#ASMEND
	buffer_store_dwordx4 v[0:3], v60, s[0:3], 16 offen
	v_pk_mul_f32 v[4:5], v[16:17], s[4:5] op_sel_hi:[1,0]
	v_pk_mul_f32 v[0:1], v[12:13], s[4:5] op_sel_hi:[1,0]
	v_pk_mul_f32 v[2:3], v[14:15], s[4:5] op_sel_hi:[1,0]
	v_cvt_f16_f32_e32 v1, v1
	v_cvt_f16_f32_e32 v7, v3
	v_cvt_f16_f32_e32 v4, v4
	v_cvt_f16_f32_e32 v8, v2
	v_cvt_f16_f32_e32 v0, v0
	v_cvt_f16_f32_e32 v3, v5
	v_fma_mixlo_f16 v6, v27, s4, 0
	v_pack_b32_f16 v2, v7, v4
	v_pack_b32_f16 v1, v1, v8
	v_pack_b32_f16 v0, v6, v0
	v_fma_mixhi_f16 v3, v28, s4, 0
	;;#ASMSTART
	s_nop 0
	;;#ASMEND
	;; [unrolled: 18-line block ×3, first 2 shown]
	buffer_store_dwordx4 v[0:3], v60, s[0:3], 48 offen
	;;#ASMSTART
	s_nop 0
	;;#ASMEND
	s_endpgm
	.section	.rodata,"a",@progbits
	.p2align	6, 0x0
	.amdhsa_kernel _ZN5aiter55rope_hadamard_rotate_activation_fp4quant_inplace_kernelIDF16_Li1024ELb0ELi32EEEvPT_PKS1_S4_S4_PKliiiii
		.amdhsa_group_segment_fixed_size 0
		.amdhsa_private_segment_fixed_size 0
		.amdhsa_kernarg_size 60
		.amdhsa_user_sgpr_count 6
		.amdhsa_user_sgpr_private_segment_buffer 1
		.amdhsa_user_sgpr_dispatch_ptr 0
		.amdhsa_user_sgpr_queue_ptr 0
		.amdhsa_user_sgpr_kernarg_segment_ptr 1
		.amdhsa_user_sgpr_dispatch_id 0
		.amdhsa_user_sgpr_flat_scratch_init 0
		.amdhsa_user_sgpr_kernarg_preload_length 0
		.amdhsa_user_sgpr_kernarg_preload_offset 0
		.amdhsa_user_sgpr_private_segment_size 0
		.amdhsa_uses_dynamic_stack 0
		.amdhsa_system_sgpr_private_segment_wavefront_offset 0
		.amdhsa_system_sgpr_workgroup_id_x 1
		.amdhsa_system_sgpr_workgroup_id_y 0
		.amdhsa_system_sgpr_workgroup_id_z 0
		.amdhsa_system_sgpr_workgroup_info 0
		.amdhsa_system_vgpr_workitem_id 0
		.amdhsa_next_free_vgpr 98
		.amdhsa_next_free_sgpr 20
		.amdhsa_accum_offset 100
		.amdhsa_reserve_vcc 1
		.amdhsa_reserve_flat_scratch 0
		.amdhsa_float_round_mode_32 0
		.amdhsa_float_round_mode_16_64 0
		.amdhsa_float_denorm_mode_32 3
		.amdhsa_float_denorm_mode_16_64 3
		.amdhsa_dx10_clamp 1
		.amdhsa_ieee_mode 1
		.amdhsa_fp16_overflow 0
		.amdhsa_tg_split 0
		.amdhsa_exception_fp_ieee_invalid_op 0
		.amdhsa_exception_fp_denorm_src 0
		.amdhsa_exception_fp_ieee_div_zero 0
		.amdhsa_exception_fp_ieee_overflow 0
		.amdhsa_exception_fp_ieee_underflow 0
		.amdhsa_exception_fp_ieee_inexact 0
		.amdhsa_exception_int_div_zero 0
	.end_amdhsa_kernel
	.section	.text._ZN5aiter55rope_hadamard_rotate_activation_fp4quant_inplace_kernelIDF16_Li1024ELb0ELi32EEEvPT_PKS1_S4_S4_PKliiiii,"axG",@progbits,_ZN5aiter55rope_hadamard_rotate_activation_fp4quant_inplace_kernelIDF16_Li1024ELb0ELi32EEEvPT_PKS1_S4_S4_PKliiiii,comdat
.Lfunc_end31:
	.size	_ZN5aiter55rope_hadamard_rotate_activation_fp4quant_inplace_kernelIDF16_Li1024ELb0ELi32EEEvPT_PKS1_S4_S4_PKliiiii, .Lfunc_end31-_ZN5aiter55rope_hadamard_rotate_activation_fp4quant_inplace_kernelIDF16_Li1024ELb0ELi32EEEvPT_PKS1_S4_S4_PKliiiii
                                        ; -- End function
	.section	.AMDGPU.csdata,"",@progbits
; Kernel info:
; codeLenInByte = 6652
; NumSgprs: 24
; NumVgprs: 98
; NumAgprs: 0
; TotalNumVgprs: 98
; ScratchSize: 0
; MemoryBound: 0
; FloatMode: 240
; IeeeMode: 1
; LDSByteSize: 0 bytes/workgroup (compile time only)
; SGPRBlocks: 2
; VGPRBlocks: 12
; NumSGPRsForWavesPerEU: 24
; NumVGPRsForWavesPerEU: 98
; AccumOffset: 100
; Occupancy: 4
; WaveLimiterHint : 1
; COMPUTE_PGM_RSRC2:SCRATCH_EN: 0
; COMPUTE_PGM_RSRC2:USER_SGPR: 6
; COMPUTE_PGM_RSRC2:TRAP_HANDLER: 0
; COMPUTE_PGM_RSRC2:TGID_X_EN: 1
; COMPUTE_PGM_RSRC2:TGID_Y_EN: 0
; COMPUTE_PGM_RSRC2:TGID_Z_EN: 0
; COMPUTE_PGM_RSRC2:TIDIG_COMP_CNT: 0
; COMPUTE_PGM_RSRC3_GFX90A:ACCUM_OFFSET: 24
; COMPUTE_PGM_RSRC3_GFX90A:TG_SPLIT: 0
	.section	.text._ZN5aiter55rope_hadamard_rotate_activation_fp4quant_inplace_kernelItLi1024ELb0ELi32EEEvPT_PKS1_S4_S4_PKliiiii,"axG",@progbits,_ZN5aiter55rope_hadamard_rotate_activation_fp4quant_inplace_kernelItLi1024ELb0ELi32EEEvPT_PKS1_S4_S4_PKliiiii,comdat
	.protected	_ZN5aiter55rope_hadamard_rotate_activation_fp4quant_inplace_kernelItLi1024ELb0ELi32EEEvPT_PKS1_S4_S4_PKliiiii ; -- Begin function _ZN5aiter55rope_hadamard_rotate_activation_fp4quant_inplace_kernelItLi1024ELb0ELi32EEEvPT_PKS1_S4_S4_PKliiiii
	.globl	_ZN5aiter55rope_hadamard_rotate_activation_fp4quant_inplace_kernelItLi1024ELb0ELi32EEEvPT_PKS1_S4_S4_PKliiiii
	.p2align	8
	.type	_ZN5aiter55rope_hadamard_rotate_activation_fp4quant_inplace_kernelItLi1024ELb0ELi32EEEvPT_PKS1_S4_S4_PKliiiii,@function
_ZN5aiter55rope_hadamard_rotate_activation_fp4quant_inplace_kernelItLi1024ELb0ELi32EEEvPT_PKS1_S4_S4_PKliiiii: ; @_ZN5aiter55rope_hadamard_rotate_activation_fp4quant_inplace_kernelItLi1024ELb0ELi32EEEvPT_PKS1_S4_S4_PKliiiii
; %bb.0:
	s_load_dwordx4 s[8:11], s[4:5], 0x28
	s_load_dwordx4 s[0:3], s[4:5], 0x0
	s_lshl_b32 s14, s6, 1
	s_mov_b32 s19, 0x20000
	v_lshlrev_b32_e32 v80, 6, v0
	s_waitcnt lgkmcnt(0)
	s_sub_i32 s6, s8, s14
	s_min_i32 s12, s6, 2
	s_mul_hi_i32 s7, s11, s14
	s_mul_i32 s6, s11, s14
	s_sub_i32 s13, 0x400, s10
	s_lshl_b64 s[6:7], s[6:7], 1
	s_add_u32 s16, s2, s6
	s_addc_u32 s2, s3, s7
	s_mul_i32 s3, s12, s11
	s_lshl_b32 s18, s3, 1
	s_and_b32 s17, s2, 0xffff
	buffer_load_dwordx4 v[14:17], v80, s[16:19], 0 offen
	buffer_load_dwordx4 v[10:13], v80, s[16:19], 16 offen
	;; [unrolled: 1-line block ×4, first 2 shown]
	v_lshrrev_b32_e32 v19, 5, v0
	v_lshlrev_b32_e32 v1, 5, v0
	v_lshlrev_b32_e32 v18, 10, v19
	v_sub_u32_e32 v1, v1, v18
	v_cmp_le_i32_e32 vcc, s13, v1
	s_waitcnt vmcnt(3)
	v_cvt_f32_u32_sdwa v79, v14 dst_sel:DWORD dst_unused:UNUSED_PAD src0_sel:WORD_1
	v_cvt_f32_u32_sdwa v67, v14 dst_sel:DWORD dst_unused:UNUSED_PAD src0_sel:WORD_0
	v_cvt_f32_u32_sdwa v65, v15 dst_sel:DWORD dst_unused:UNUSED_PAD src0_sel:WORD_1
	v_cvt_f32_u32_sdwa v66, v15 dst_sel:DWORD dst_unused:UNUSED_PAD src0_sel:WORD_0
	;; [unrolled: 2-line block ×4, first 2 shown]
	s_waitcnt vmcnt(2)
	v_cvt_f32_u32_sdwa v53, v11 dst_sel:DWORD dst_unused:UNUSED_PAD src0_sel:WORD_0
	v_cvt_f32_u32_sdwa v44, v10 dst_sel:DWORD dst_unused:UNUSED_PAD src0_sel:WORD_0
	v_cvt_f32_u32_sdwa v59, v11 dst_sel:DWORD dst_unused:UNUSED_PAD src0_sel:WORD_1
	v_cvt_f32_u32_sdwa v46, v10 dst_sel:DWORD dst_unused:UNUSED_PAD src0_sel:WORD_1
	v_cvt_f32_u32_sdwa v57, v12 dst_sel:DWORD dst_unused:UNUSED_PAD src0_sel:WORD_1
	v_cvt_f32_u32_sdwa v38, v12 dst_sel:DWORD dst_unused:UNUSED_PAD src0_sel:WORD_0
	v_cvt_f32_u32_sdwa v63, v13 dst_sel:DWORD dst_unused:UNUSED_PAD src0_sel:WORD_1
	v_cvt_f32_u32_sdwa v68, v13 dst_sel:DWORD dst_unused:UNUSED_PAD src0_sel:WORD_0
	s_waitcnt vmcnt(1)
	v_cvt_f32_u32_sdwa v41, v7 dst_sel:DWORD dst_unused:UNUSED_PAD src0_sel:WORD_0
	v_cvt_f32_u32_sdwa v32, v6 dst_sel:DWORD dst_unused:UNUSED_PAD src0_sel:WORD_0
	v_cvt_f32_u32_sdwa v51, v7 dst_sel:DWORD dst_unused:UNUSED_PAD src0_sel:WORD_1
	v_cvt_f32_u32_sdwa v34, v6 dst_sel:DWORD dst_unused:UNUSED_PAD src0_sel:WORD_1
	v_cvt_f32_u32_sdwa v29, v8 dst_sel:DWORD dst_unused:UNUSED_PAD src0_sel:WORD_1
	v_cvt_f32_u32_sdwa v20, v8 dst_sel:DWORD dst_unused:UNUSED_PAD src0_sel:WORD_0
	v_cvt_f32_u32_sdwa v43, v9 dst_sel:DWORD dst_unused:UNUSED_PAD src0_sel:WORD_1
	v_cvt_f32_u32_sdwa v54, v9 dst_sel:DWORD dst_unused:UNUSED_PAD src0_sel:WORD_0
	;; [unrolled: 9-line block ×3, first 2 shown]
	s_and_saveexec_b64 s[2:3], vcc
	s_xor_b64 s[2:3], exec, s[2:3]
	s_cbranch_execz .LBB32_2
; %bb.1:
	v_add_u32_e32 v18, s14, v19
	s_add_i32 s11, s8, -1
	v_mov_b32_e32 v19, s11
	v_cmp_gt_i32_e32 vcc, s8, v18
	s_ff1_i32_b32 s11, s9
	s_load_dwordx2 s[8:9], s[4:5], 0x20
	s_load_dwordx4 s[16:19], s[4:5], 0x10
	v_cndmask_b32_e32 v18, v19, v18, vcc
	v_ashrrev_i32_e32 v18, s11, v18
	v_ashrrev_i32_e32 v19, 31, v18
	v_lshlrev_b64 v[18:19], 3, v[18:19]
	s_waitcnt lgkmcnt(0)
	v_mov_b32_e32 v20, s9
	v_add_co_u32_e32 v18, vcc, s8, v18
	v_addc_co_u32_e32 v19, vcc, v20, v19, vcc
	global_load_dwordx2 v[18:19], v[18:19], off
	s_lshr_b32 s4, s10, 31
	s_add_i32 s4, s10, s4
	s_ashr_i32 s4, s4, 1
	s_ashr_i32 s5, s4, 31
	v_subrev_u32_e32 v1, s13, v1
	v_lshrrev_b32_e32 v20, 31, v1
	v_add_u32_e32 v1, v1, v20
	v_ashrrev_i32_e32 v20, 1, v1
	v_mov_b32_e32 v1, s17
	v_ashrrev_i32_e32 v21, 31, v20
	v_mov_b32_e32 v22, s19
	v_lshlrev_b64 v[20:21], 1, v[20:21]
	v_cvt_f32_u32_sdwa v75, v14 dst_sel:DWORD dst_unused:UNUSED_PAD src0_sel:WORD_1
	v_cvt_f32_u32_sdwa v74, v14 dst_sel:DWORD dst_unused:UNUSED_PAD src0_sel:WORD_0
	v_cvt_f32_u32_sdwa v14, v16 dst_sel:DWORD dst_unused:UNUSED_PAD src0_sel:WORD_0
	v_cvt_f32_u32_sdwa v87, v4 dst_sel:DWORD dst_unused:UNUSED_PAD src0_sel:WORD_1
	v_cvt_f32_u32_sdwa v86, v4 dst_sel:DWORD dst_unused:UNUSED_PAD src0_sel:WORD_0
	v_cvt_f32_u32_sdwa v31, v12 dst_sel:DWORD dst_unused:UNUSED_PAD src0_sel:WORD_1
	;; [unrolled: 2-line block ×3, first 2 shown]
	v_cvt_f32_u32_sdwa v32, v13 dst_sel:DWORD dst_unused:UNUSED_PAD src0_sel:WORD_0
	v_cvt_f32_u32_sdwa v13, v7 dst_sel:DWORD dst_unused:UNUSED_PAD src0_sel:WORD_0
	;; [unrolled: 1-line block ×3, first 2 shown]
	v_cvt_f32_u32_sdwa v7, v7 dst_sel:DWORD dst_unused:UNUSED_PAD src0_sel:WORD_1
	v_cvt_f32_u32_sdwa v6, v6 dst_sel:DWORD dst_unused:UNUSED_PAD src0_sel:WORD_1
	;; [unrolled: 1-line block ×3, first 2 shown]
	v_cvt_f32_u32_sdwa v88, v5 dst_sel:DWORD dst_unused:UNUSED_PAD src0_sel:WORD_0
	v_cvt_f32_u32_sdwa v37, v8 dst_sel:DWORD dst_unused:UNUSED_PAD src0_sel:WORD_1
	v_cvt_f32_u32_sdwa v36, v8 dst_sel:DWORD dst_unused:UNUSED_PAD src0_sel:WORD_0
	v_cvt_f32_u32_sdwa v43, v9 dst_sel:DWORD dst_unused:UNUSED_PAD src0_sel:WORD_1
	v_cvt_f32_u32_sdwa v42, v9 dst_sel:DWORD dst_unused:UNUSED_PAD src0_sel:WORD_0
	v_cvt_f32_u32_sdwa v9, v3 dst_sel:DWORD dst_unused:UNUSED_PAD src0_sel:WORD_0
	;; [unrolled: 1-line block ×3, first 2 shown]
	v_cvt_f32_u32_sdwa v3, v3 dst_sel:DWORD dst_unused:UNUSED_PAD src0_sel:WORD_1
	v_cvt_f32_u32_sdwa v2, v2 dst_sel:DWORD dst_unused:UNUSED_PAD src0_sel:WORD_1
	s_waitcnt vmcnt(0)
	v_mul_lo_u32 v23, v19, s4
	v_mul_lo_u32 v24, v18, s5
	v_mad_u64_u32 v[18:19], s[4:5], v18, s4, 0
	v_add3_u32 v19, v19, v24, v23
	v_lshlrev_b64 v[18:19], 1, v[18:19]
	v_add_co_u32_e32 v23, vcc, s16, v18
	v_addc_co_u32_e32 v1, vcc, v1, v19, vcc
	v_add_co_u32_e32 v18, vcc, s18, v18
	v_addc_co_u32_e32 v19, vcc, v22, v19, vcc
	;; [unrolled: 2-line block ×4, first 2 shown]
	global_load_dwordx4 v[18:21], v[26:27], off
	global_load_dwordx4 v[22:25], v[28:29], off
	global_load_dwordx4 v[76:79], v[28:29], off offset:16
	global_load_dwordx4 v[82:85], v[26:27], off offset:16
	v_cvt_f32_u32_sdwa v27, v15 dst_sel:DWORD dst_unused:UNUSED_PAD src0_sel:WORD_1
	v_cvt_f32_u32_sdwa v26, v15 dst_sel:DWORD dst_unused:UNUSED_PAD src0_sel:WORD_0
	v_cvt_f32_u32_sdwa v15, v16 dst_sel:DWORD dst_unused:UNUSED_PAD src0_sel:WORD_1
	v_cvt_f32_u32_sdwa v29, v17 dst_sel:DWORD dst_unused:UNUSED_PAD src0_sel:WORD_1
	v_cvt_f32_u32_sdwa v28, v17 dst_sel:DWORD dst_unused:UNUSED_PAD src0_sel:WORD_0
	v_cvt_f32_u32_sdwa v17, v11 dst_sel:DWORD dst_unused:UNUSED_PAD src0_sel:WORD_0
	;; [unrolled: 1-line block ×3, first 2 shown]
	v_cvt_f32_u32_sdwa v11, v11 dst_sel:DWORD dst_unused:UNUSED_PAD src0_sel:WORD_1
	v_cvt_f32_u32_sdwa v10, v10 dst_sel:DWORD dst_unused:UNUSED_PAD src0_sel:WORD_1
	s_waitcnt vmcnt(3)
	v_cvt_f32_u32_sdwa v4, v18 dst_sel:DWORD dst_unused:UNUSED_PAD src0_sel:WORD_1
	s_waitcnt vmcnt(2)
	v_cvt_f32_u32_sdwa v34, v22 dst_sel:DWORD dst_unused:UNUSED_PAD src0_sel:WORD_1
	v_cvt_f32_u32_sdwa v40, v23 dst_sel:DWORD dst_unused:UNUSED_PAD src0_sel:WORD_0
	v_cvt_f32_u32_sdwa v38, v19 dst_sel:DWORD dst_unused:UNUSED_PAD src0_sel:WORD_0
	v_cvt_f32_u32_sdwa v46, v23 dst_sel:DWORD dst_unused:UNUSED_PAD src0_sel:WORD_1
	v_cvt_f32_u32_sdwa v44, v19 dst_sel:DWORD dst_unused:UNUSED_PAD src0_sel:WORD_1
	;; [unrolled: 1-line block ×3, first 2 shown]
	v_cvt_f32_u32_sdwa v50, v20 dst_sel:DWORD dst_unused:UNUSED_PAD src0_sel:WORD_0
	v_cvt_f32_u32_sdwa v53, v20 dst_sel:DWORD dst_unused:UNUSED_PAD src0_sel:WORD_1
	v_cvt_f32_u32_sdwa v52, v24 dst_sel:DWORD dst_unused:UNUSED_PAD src0_sel:WORD_0
	v_cvt_f32_u32_sdwa v20, v25 dst_sel:DWORD dst_unused:UNUSED_PAD src0_sel:WORD_0
	v_pk_mul_f32 v[34:35], v[34:35], v[26:27] op_sel_hi:[0,1]
	v_cvt_f32_u32_sdwa v24, v21 dst_sel:DWORD dst_unused:UNUSED_PAD src0_sel:WORD_0
	v_pk_fma_f32 v[66:67], v[4:5], v[26:27], v[34:35] op_sel:[0,0,1] op_sel_hi:[0,1,0] neg_lo:[0,0,1] neg_hi:[0,0,1]
	v_pk_fma_f32 v[64:65], v[4:5], v[26:27], v[34:35] op_sel:[0,0,1] op_sel_hi:[0,1,0]
	v_pk_mul_f32 v[26:27], v[40:41], v[14:15] op_sel_hi:[0,1]
	v_cvt_f32_u32_sdwa v90, v22 dst_sel:DWORD dst_unused:UNUSED_PAD src0_sel:WORD_0
	v_cvt_f32_u32_sdwa v22, v25 dst_sel:DWORD dst_unused:UNUSED_PAD src0_sel:WORD_1
	v_pk_fma_f32 v[48:49], v[38:39], v[14:15], v[26:27] op_sel:[0,0,1] op_sel_hi:[0,1,0] neg_lo:[0,0,1] neg_hi:[0,0,1]
	v_pk_fma_f32 v[60:61], v[38:39], v[14:15], v[26:27] op_sel:[0,0,1] op_sel_hi:[0,1,0]
	v_pk_mul_f32 v[26:27], v[46:47], v[28:29] op_sel_hi:[0,1]
	v_cvt_f32_u32_sdwa v91, v18 dst_sel:DWORD dst_unused:UNUSED_PAD src0_sel:WORD_0
	v_cvt_f32_u32_sdwa v18, v21 dst_sel:DWORD dst_unused:UNUSED_PAD src0_sel:WORD_1
	s_waitcnt vmcnt(1)
	v_cvt_f32_u32_sdwa v5, v76 dst_sel:DWORD dst_unused:UNUSED_PAD src0_sel:WORD_1
	s_waitcnt vmcnt(0)
	v_cvt_f32_u32_sdwa v15, v82 dst_sel:DWORD dst_unused:UNUSED_PAD src0_sel:WORD_1
	v_cvt_f32_u32_sdwa v14, v76 dst_sel:DWORD dst_unused:UNUSED_PAD src0_sel:WORD_0
	v_cvt_f32_u32_sdwa v4, v82 dst_sel:DWORD dst_unused:UNUSED_PAD src0_sel:WORD_0
	v_pk_fma_f32 v[72:73], v[44:45], v[28:29], v[26:27] op_sel:[0,0,1] op_sel_hi:[0,1,0] neg_lo:[0,0,1] neg_hi:[0,0,1]
	v_pk_fma_f32 v[70:71], v[44:45], v[28:29], v[26:27] op_sel:[0,0,1] op_sel_hi:[0,1,0]
	v_pk_mul_f32 v[26:27], v[52:53], v[10:11]
	v_pk_mul_f32 v[10:11], v[50:51], v[10:11]
	v_pk_fma_f32 v[46:47], v[52:53], v[16:17], v[10:11]
	v_pk_fma_f32 v[52:53], v[52:53], v[16:17], v[10:11] neg_lo:[0,0,1] neg_hi:[0,0,1]
	v_pk_fma_f32 v[44:45], v[50:51], v[16:17], v[26:27] neg_lo:[0,0,1] neg_hi:[0,0,1]
	v_pk_fma_f32 v[58:59], v[50:51], v[16:17], v[26:27]
	v_cvt_f32_u32_sdwa v10, v77 dst_sel:DWORD dst_unused:UNUSED_PAD src0_sel:WORD_0
	v_pk_mul_f32 v[16:17], v[20:21], v[30:31] op_sel_hi:[0,1]
	v_pk_fma_f32 v[38:39], v[24:25], v[30:31], v[16:17] op_sel:[0,0,1] op_sel_hi:[0,1,0] neg_lo:[0,0,1] neg_hi:[0,0,1]
	v_pk_fma_f32 v[56:57], v[24:25], v[30:31], v[16:17] op_sel:[0,0,1] op_sel_hi:[0,1,0]
	v_cvt_f32_u32_sdwa v16, v83 dst_sel:DWORD dst_unused:UNUSED_PAD src0_sel:WORD_0
	v_pk_mul_f32 v[20:21], v[22:23], v[32:33] op_sel_hi:[0,1]
	v_pk_fma_f32 v[68:69], v[18:19], v[32:33], v[20:21] op_sel:[0,0,1] op_sel_hi:[0,1,0] neg_lo:[0,0,1] neg_hi:[0,0,1]
	v_pk_fma_f32 v[62:63], v[18:19], v[32:33], v[20:21] op_sel:[0,0,1] op_sel_hi:[0,1,0]
	v_pk_mul_f32 v[18:19], v[14:15], v[6:7]
	v_pk_mul_f32 v[6:7], v[4:5], v[6:7]
	v_pk_fma_f32 v[34:35], v[14:15], v[12:13], v[6:7]
	v_pk_fma_f32 v[40:41], v[14:15], v[12:13], v[6:7] neg_lo:[0,0,1] neg_hi:[0,0,1]
	v_pk_fma_f32 v[32:33], v[4:5], v[12:13], v[18:19] neg_lo:[0,0,1] neg_hi:[0,0,1]
	v_pk_fma_f32 v[50:51], v[4:5], v[12:13], v[18:19]
	v_cvt_f32_u32_sdwa v4, v77 dst_sel:DWORD dst_unused:UNUSED_PAD src0_sel:WORD_1
	v_pk_mul_f32 v[6:7], v[10:11], v[36:37] op_sel_hi:[0,1]
	v_pk_fma_f32 v[20:21], v[16:17], v[36:37], v[6:7] op_sel:[0,0,1] op_sel_hi:[0,1,0] neg_lo:[0,0,1] neg_hi:[0,0,1]
	v_pk_fma_f32 v[28:29], v[16:17], v[36:37], v[6:7] op_sel:[0,0,1] op_sel_hi:[0,1,0]
	v_cvt_f32_u32_sdwa v6, v83 dst_sel:DWORD dst_unused:UNUSED_PAD src0_sel:WORD_1
	v_pk_mul_f32 v[4:5], v[4:5], v[42:43] op_sel_hi:[0,1]
	v_mul_f32_e32 v1, v91, v74
	v_fma_f32 v67, -v75, v90, v1
	v_pk_fma_f32 v[54:55], v[6:7], v[42:43], v[4:5] op_sel:[0,0,1] op_sel_hi:[0,1,0] neg_lo:[0,0,1] neg_hi:[0,0,1]
	v_pk_fma_f32 v[42:43], v[6:7], v[42:43], v[4:5] op_sel:[0,0,1] op_sel_hi:[0,1,0]
	v_cvt_f32_u32_sdwa v5, v84 dst_sel:DWORD dst_unused:UNUSED_PAD src0_sel:WORD_1
	v_cvt_f32_u32_sdwa v4, v78 dst_sel:DWORD dst_unused:UNUSED_PAD src0_sel:WORD_0
	v_cvt_f32_u32_sdwa v7, v78 dst_sel:DWORD dst_unused:UNUSED_PAD src0_sel:WORD_1
	v_cvt_f32_u32_sdwa v6, v84 dst_sel:DWORD dst_unused:UNUSED_PAD src0_sel:WORD_0
	v_pk_mul_f32 v[10:11], v[4:5], v[2:3]
	v_pk_mul_f32 v[2:3], v[6:7], v[2:3]
	v_pk_fma_f32 v[24:25], v[4:5], v[8:9], v[2:3]
	v_pk_fma_f32 v[26:27], v[4:5], v[8:9], v[2:3] neg_lo:[0,0,1] neg_hi:[0,0,1]
	v_cvt_f32_u32_sdwa v2, v79 dst_sel:DWORD dst_unused:UNUSED_PAD src0_sel:WORD_0
	v_pk_fma_f32 v[22:23], v[6:7], v[8:9], v[10:11] neg_lo:[0,0,1] neg_hi:[0,0,1]
	v_pk_fma_f32 v[36:37], v[6:7], v[8:9], v[10:11]
	v_cvt_f32_u32_sdwa v6, v85 dst_sel:DWORD dst_unused:UNUSED_PAD src0_sel:WORD_0
	v_cvt_f32_u32_sdwa v4, v79 dst_sel:DWORD dst_unused:UNUSED_PAD src0_sel:WORD_1
	v_cvt_f32_u32_sdwa v5, v85 dst_sel:DWORD dst_unused:UNUSED_PAD src0_sel:WORD_1
	v_pk_mul_f32 v[2:3], v[2:3], v[86:87] op_sel_hi:[0,1]
	v_pk_fma_f32 v[18:19], v[6:7], v[86:87], v[2:3] op_sel:[0,0,1] op_sel_hi:[0,1,0] neg_lo:[0,0,1] neg_hi:[0,0,1]
	v_pk_fma_f32 v[30:31], v[6:7], v[86:87], v[2:3] op_sel:[0,0,1] op_sel_hi:[0,1,0]
	v_mov_b32_e32 v2, v89
	v_pk_mul_f32 v[6:7], v[90:91], v[74:75]
	v_pk_mul_f32 v[2:3], v[2:3], v[4:5] op_sel_hi:[0,1]
	v_mov_b32_e32 v1, v6
	v_mov_b32_e32 v6, v5
	v_pk_mul_f32 v[8:9], v[4:5], v[88:89]
	v_pk_fma_f32 v[76:77], v[6:7], v[88:89], v[2:3] op_sel_hi:[0,1,1] neg_lo:[0,0,1] neg_hi:[0,0,1]
	v_mov_b32_e32 v2, v9
	v_pk_fma_f32 v[78:79], v[90:91], v[74:75], v[0:1]
	v_pk_fma_f32 v[74:75], v[4:5], v[88:89], v[2:3]
.LBB32_2:
	s_andn2_saveexec_b64 s[2:3], s[2:3]
	s_or_b64 exec, exec, s[2:3]
	v_mov_b32_e32 v8, v79
	v_mov_b32_e32 v9, v66
	v_mov_b32_e32 v64, v67
	v_mov_b32_e32 v73, v48
	v_mov_b32_e32 v60, v71
	v_mov_b32_e32 v47, v53
	v_mov_b32_e32 v45, v59
	v_mov_b32_e32 v69, v38
	v_mov_b32_e32 v56, v63
	v_mov_b32_e32 v78, v65
	v_pk_add_f32 v[6:7], v[8:9], v[64:65]
	v_pk_add_f32 v[8:9], v[8:9], v[64:65] neg_lo:[0,1] neg_hi:[0,1]
	v_pk_add_f32 v[10:11], v[72:73], v[60:61]
	v_pk_add_f32 v[12:13], v[72:73], v[60:61] neg_lo:[0,1] neg_hi:[0,1]
	v_mov_b32_e32 v16, v61
	v_mov_b32_e32 v17, v72
	;; [unrolled: 1-line block ×7, first 2 shown]
	v_pk_add_f32 v[52:53], v[46:47], v[44:45]
	v_pk_add_f32 v[44:45], v[46:47], v[44:45] neg_lo:[0,1] neg_hi:[0,1]
	v_pk_add_f32 v[46:47], v[68:69], v[56:57]
	v_pk_add_f32 v[58:59], v[68:69], v[56:57] neg_lo:[0,1] neg_hi:[0,1]
	v_mov_b32_e32 v56, v57
	v_mov_b32_e32 v57, v68
	;; [unrolled: 1-line block ×7, first 2 shown]
	v_pk_add_f32 v[14:15], v[16:17], v[48:49]
	v_pk_add_f32 v[16:17], v[16:17], v[48:49] neg_lo:[0,1] neg_hi:[0,1]
	v_pk_add_f32 v[48:49], v[60:61], v[64:65]
	v_pk_add_f32 v[60:61], v[60:61], v[64:65] neg_lo:[0,1] neg_hi:[0,1]
	;; [unrolled: 2-line block ×3, first 2 shown]
	v_mov_b32_e32 v56, v41
	v_mov_b32_e32 v57, v32
	;; [unrolled: 1-line block ×4, first 2 shown]
	v_pk_add_f32 v[40:41], v[34:35], v[32:33]
	v_pk_add_f32 v[32:33], v[34:35], v[32:33] neg_lo:[0,1] neg_hi:[0,1]
	v_pk_add_f32 v[34:35], v[54:55], v[28:29]
	v_pk_add_f32 v[50:51], v[54:55], v[28:29] neg_lo:[0,1] neg_hi:[0,1]
	v_mov_b32_e32 v28, v29
	v_mov_b32_e32 v29, v54
	v_mov_b32_e32 v21, v43
	v_mov_b32_e32 v25, v27
	v_mov_b32_e32 v23, v37
	v_pk_add_f32 v[42:43], v[28:29], v[20:21]
	v_pk_add_f32 v[20:21], v[28:29], v[20:21] neg_lo:[0,1] neg_hi:[0,1]
	v_mov_b32_e32 v28, v27
	v_mov_b32_e32 v29, v22
	;; [unrolled: 1-line block ×4, first 2 shown]
	v_pk_add_f32 v[26:27], v[24:25], v[22:23]
	v_pk_add_f32 v[22:23], v[24:25], v[22:23] neg_lo:[0,1] neg_hi:[0,1]
	v_mov_b32_e32 v77, v18
	v_mov_b32_e32 v75, v31
	;; [unrolled: 1-line block ×5, first 2 shown]
	v_pk_add_f32 v[2:3], v[66:67], v[78:79]
	v_pk_add_f32 v[4:5], v[66:67], v[78:79] neg_lo:[0,1] neg_hi:[0,1]
	v_pk_add_f32 v[66:67], v[56:57], v[64:65]
	v_pk_add_f32 v[56:57], v[56:57], v[64:65] neg_lo:[0,1] neg_hi:[0,1]
	;; [unrolled: 2-line block ×5, first 2 shown]
	v_mov_b32_e32 v3, v5
	v_mov_b32_e32 v7, v9
	;; [unrolled: 1-line block ×16, first 2 shown]
	v_pk_add_f32 v[68:69], v[6:7], v[2:3]
	v_pk_add_f32 v[70:71], v[14:15], v[10:11]
	;; [unrolled: 1-line block ×8, first 2 shown]
	v_mov_b32_e32 v7, v5
	v_mov_b32_e32 v3, v9
	;; [unrolled: 1-line block ×16, first 2 shown]
	v_pk_add_f32 v[86:87], v[68:69], v[70:71]
	v_pk_add_f32 v[88:89], v[72:73], v[74:75]
	;; [unrolled: 1-line block ×4, first 2 shown]
	v_pk_add_f32 v[2:3], v[6:7], v[2:3] neg_lo:[0,1] neg_hi:[0,1]
	v_pk_add_f32 v[4:5], v[14:15], v[10:11] neg_lo:[0,1] neg_hi:[0,1]
	;; [unrolled: 1-line block ×8, first 2 shown]
	v_pk_add_f32 v[18:19], v[86:87], v[88:89]
	v_pk_add_f32 v[94:95], v[90:91], v[92:93]
	;; [unrolled: 1-line block ×6, first 2 shown]
	v_pk_add_f32 v[2:3], v[2:3], v[4:5] neg_lo:[0,1] neg_hi:[0,1]
	v_pk_add_f32 v[4:5], v[6:7], v[8:9] neg_lo:[0,1] neg_hi:[0,1]
	;; [unrolled: 1-line block ×4, first 2 shown]
	v_pk_add_f32 v[96:97], v[18:19], v[94:95]
	v_pk_add_f32 v[28:29], v[20:21], v[22:23]
	;; [unrolled: 1-line block ×4, first 2 shown]
	v_pk_add_f32 v[2:3], v[2:3], v[4:5] neg_lo:[0,1] neg_hi:[0,1]
	v_pk_add_f32 v[4:5], v[6:7], v[8:9] neg_lo:[0,1] neg_hi:[0,1]
	v_and_b32_e32 v1, 1, v0
	v_pk_add_f32 v[32:33], v[28:29], v[30:31]
	v_pk_add_f32 v[28:29], v[28:29], v[30:31] neg_lo:[0,1] neg_hi:[0,1]
	v_pk_add_f32 v[30:31], v[68:69], v[70:71] neg_lo:[0,1] neg_hi:[0,1]
	;; [unrolled: 1-line block ×5, first 2 shown]
	v_pk_add_f32 v[12:13], v[6:7], v[8:9]
	v_pk_add_f32 v[6:7], v[2:3], v[4:5]
	v_pk_add_f32 v[2:3], v[2:3], v[4:5] neg_lo:[0,1] neg_hi:[0,1]
	v_sub_f32_dpp v4, v96, v96 quad_perm:[1,0,3,2] row_mask:0xf bank_mask:0xf bound_ctrl:1
	v_add_f32_dpp v5, v96, v96 quad_perm:[1,0,3,2] row_mask:0xf bank_mask:0xf bound_ctrl:1
	v_cmp_eq_u32_e32 vcc, 0, v1
	v_pk_add_f32 v[40:41], v[30:31], v[34:35]
	v_pk_add_f32 v[42:43], v[36:37], v[38:39]
	;; [unrolled: 1-line block ×3, first 2 shown]
	v_pk_add_f32 v[10:11], v[10:11], v[12:13] neg_lo:[0,1] neg_hi:[0,1]
	v_pk_add_f32 v[12:13], v[86:87], v[88:89] neg_lo:[0,1] neg_hi:[0,1]
	;; [unrolled: 1-line block ×3, first 2 shown]
	v_cndmask_b32_e32 v1, v4, v5, vcc
	v_sub_f32_dpp v4, v97, v97 quad_perm:[1,0,3,2] row_mask:0xf bank_mask:0xf bound_ctrl:1
	v_add_f32_dpp v5, v97, v97 quad_perm:[1,0,3,2] row_mask:0xf bank_mask:0xf bound_ctrl:1
	v_pk_add_f32 v[44:45], v[40:41], v[42:43]
	v_pk_add_f32 v[40:41], v[40:41], v[42:43] neg_lo:[0,1] neg_hi:[0,1]
	v_pk_add_f32 v[42:43], v[12:13], v[16:17]
	v_pk_add_f32 v[12:13], v[12:13], v[16:17] neg_lo:[0,1] neg_hi:[0,1]
	v_pk_add_f32 v[16:17], v[20:21], v[22:23] neg_lo:[0,1] neg_hi:[0,1]
	;; [unrolled: 1-line block ×3, first 2 shown]
	v_cndmask_b32_e32 v4, v4, v5, vcc
	v_sub_f32_dpp v5, v32, v32 quad_perm:[1,0,3,2] row_mask:0xf bank_mask:0xf bound_ctrl:1
	v_add_f32_dpp v8, v32, v32 quad_perm:[1,0,3,2] row_mask:0xf bank_mask:0xf bound_ctrl:1
	v_pk_add_f32 v[22:23], v[16:17], v[20:21]
	v_pk_add_f32 v[16:17], v[16:17], v[20:21] neg_lo:[0,1] neg_hi:[0,1]
	v_pk_add_f32 v[20:21], v[30:31], v[34:35] neg_lo:[0,1] neg_hi:[0,1]
	;; [unrolled: 1-line block ×3, first 2 shown]
	v_cndmask_b32_e32 v5, v5, v8, vcc
	v_sub_f32_dpp v8, v33, v33 quad_perm:[1,0,3,2] row_mask:0xf bank_mask:0xf bound_ctrl:1
	v_add_f32_dpp v9, v33, v33 quad_perm:[1,0,3,2] row_mask:0xf bank_mask:0xf bound_ctrl:1
	v_pk_add_f32 v[26:27], v[20:21], v[24:25]
	v_pk_add_f32 v[20:21], v[20:21], v[24:25] neg_lo:[0,1] neg_hi:[0,1]
	v_cndmask_b32_e32 v8, v8, v9, vcc
	v_sub_f32_dpp v9, v44, v44 quad_perm:[1,0,3,2] row_mask:0xf bank_mask:0xf bound_ctrl:1
	v_add_f32_dpp v24, v44, v44 quad_perm:[1,0,3,2] row_mask:0xf bank_mask:0xf bound_ctrl:1
	v_cndmask_b32_e32 v9, v9, v24, vcc
	v_add_f32_dpp v25, v45, v45 quad_perm:[1,0,3,2] row_mask:0xf bank_mask:0xf bound_ctrl:1
	v_sub_f32_dpp v24, v45, v45 quad_perm:[1,0,3,2] row_mask:0xf bank_mask:0xf bound_ctrl:1
	v_cndmask_b32_e32 v24, v24, v25, vcc
	v_sub_f32_dpp v25, v14, v14 quad_perm:[1,0,3,2] row_mask:0xf bank_mask:0xf bound_ctrl:1
	v_add_f32_dpp v14, v14, v14 quad_perm:[1,0,3,2] row_mask:0xf bank_mask:0xf bound_ctrl:1
	v_cndmask_b32_e32 v14, v25, v14, vcc
	v_sub_f32_dpp v25, v15, v15 quad_perm:[1,0,3,2] row_mask:0xf bank_mask:0xf bound_ctrl:1
	v_add_f32_dpp v15, v15, v15 quad_perm:[1,0,3,2] row_mask:0xf bank_mask:0xf bound_ctrl:1
	;; [unrolled: 3-line block ×3, first 2 shown]
	v_cndmask_b32_e32 v25, v25, v30, vcc
	v_add_f32_dpp v31, v43, v43 quad_perm:[1,0,3,2] row_mask:0xf bank_mask:0xf bound_ctrl:1
	v_sub_f32_dpp v30, v43, v43 quad_perm:[1,0,3,2] row_mask:0xf bank_mask:0xf bound_ctrl:1
	v_cndmask_b32_e32 v30, v30, v31, vcc
	v_sub_f32_dpp v31, v22, v22 quad_perm:[1,0,3,2] row_mask:0xf bank_mask:0xf bound_ctrl:1
	v_add_f32_dpp v22, v22, v22 quad_perm:[1,0,3,2] row_mask:0xf bank_mask:0xf bound_ctrl:1
	v_cndmask_b32_e32 v22, v31, v22, vcc
	v_sub_f32_dpp v31, v23, v23 quad_perm:[1,0,3,2] row_mask:0xf bank_mask:0xf bound_ctrl:1
	v_add_f32_dpp v23, v23, v23 quad_perm:[1,0,3,2] row_mask:0xf bank_mask:0xf bound_ctrl:1
	;; [unrolled: 3-line block ×5, first 2 shown]
	v_pk_add_f32 v[18:19], v[18:19], v[94:95] neg_lo:[0,1] neg_hi:[0,1]
	v_cndmask_b32_e32 v6, v31, v6, vcc
	v_sub_f32_dpp v31, v7, v7 quad_perm:[1,0,3,2] row_mask:0xf bank_mask:0xf bound_ctrl:1
	v_add_f32_dpp v7, v7, v7 quad_perm:[1,0,3,2] row_mask:0xf bank_mask:0xf bound_ctrl:1
	v_cndmask_b32_e32 v7, v31, v7, vcc
	v_sub_f32_dpp v31, v18, v18 quad_perm:[1,0,3,2] row_mask:0xf bank_mask:0xf bound_ctrl:1
	v_add_f32_dpp v18, v18, v18 quad_perm:[1,0,3,2] row_mask:0xf bank_mask:0xf bound_ctrl:1
	;; [unrolled: 3-line block ×6, first 2 shown]
	v_cndmask_b32_e32 v31, v31, v32, vcc
	v_add_f32_dpp v33, v41, v41 quad_perm:[1,0,3,2] row_mask:0xf bank_mask:0xf bound_ctrl:1
	v_sub_f32_dpp v32, v41, v41 quad_perm:[1,0,3,2] row_mask:0xf bank_mask:0xf bound_ctrl:1
	v_cndmask_b32_e32 v32, v32, v33, vcc
	v_sub_f32_dpp v33, v10, v10 quad_perm:[1,0,3,2] row_mask:0xf bank_mask:0xf bound_ctrl:1
	v_add_f32_dpp v10, v10, v10 quad_perm:[1,0,3,2] row_mask:0xf bank_mask:0xf bound_ctrl:1
	v_cndmask_b32_e32 v10, v33, v10, vcc
	v_sub_f32_dpp v33, v11, v11 quad_perm:[1,0,3,2] row_mask:0xf bank_mask:0xf bound_ctrl:1
	v_add_f32_dpp v11, v11, v11 quad_perm:[1,0,3,2] row_mask:0xf bank_mask:0xf bound_ctrl:1
	;; [unrolled: 3-line block ×10, first 2 shown]
	v_cndmask_b32_e32 v3, v33, v3, vcc
	v_and_b32_e32 v33, 2, v0
	v_cmp_eq_u32_e32 vcc, 0, v33
	v_sub_f32_dpp v34, v1, v1 quad_perm:[2,3,0,1] row_mask:0xf bank_mask:0xf bound_ctrl:1
	v_sub_f32_dpp v33, v4, v4 quad_perm:[2,3,0,1] row_mask:0xf bank_mask:0xf bound_ctrl:1
	v_add_f32_dpp v4, v4, v4 quad_perm:[2,3,0,1] row_mask:0xf bank_mask:0xf bound_ctrl:1
	v_cndmask_b32_e32 v4, v33, v4, vcc
	v_sub_f32_dpp v33, v5, v5 quad_perm:[2,3,0,1] row_mask:0xf bank_mask:0xf bound_ctrl:1
	v_add_f32_dpp v5, v5, v5 quad_perm:[2,3,0,1] row_mask:0xf bank_mask:0xf bound_ctrl:1
	v_cndmask_b32_e32 v5, v33, v5, vcc
	;; [unrolled: 3-line block ×28, first 2 shown]
	v_sub_f32_dpp v33, v21, v21 quad_perm:[2,3,0,1] row_mask:0xf bank_mask:0xf bound_ctrl:1
	v_add_f32_dpp v21, v21, v21 quad_perm:[2,3,0,1] row_mask:0xf bank_mask:0xf bound_ctrl:1
	v_add_f32_dpp v1, v1, v1 quad_perm:[2,3,0,1] row_mask:0xf bank_mask:0xf bound_ctrl:1
	v_cndmask_b32_e32 v21, v33, v21, vcc
	v_sub_f32_dpp v33, v2, v2 quad_perm:[2,3,0,1] row_mask:0xf bank_mask:0xf bound_ctrl:1
	v_add_f32_dpp v2, v2, v2 quad_perm:[2,3,0,1] row_mask:0xf bank_mask:0xf bound_ctrl:1
	v_cndmask_b32_e32 v1, v34, v1, vcc
	v_cndmask_b32_e32 v2, v33, v2, vcc
	v_sub_f32_dpp v33, v3, v3 quad_perm:[2,3,0,1] row_mask:0xf bank_mask:0xf bound_ctrl:1
	v_add_f32_dpp v3, v3, v3 quad_perm:[2,3,0,1] row_mask:0xf bank_mask:0xf bound_ctrl:1
	v_cndmask_b32_e32 v3, v33, v3, vcc
	v_mov_b32_dpp v33, v1 row_shl:4 row_mask:0xf bank_mask:0x5 bound_ctrl:1
	v_and_b32_e32 v34, 4, v0
	v_cmp_eq_u32_e32 vcc, 0, v34
	v_mov_b32_dpp v33, v1 row_shr:4 row_mask:0xf bank_mask:0xa bound_ctrl:1
	v_sub_f32_e32 v35, v33, v1
	v_add_f32_e32 v1, v1, v33
	v_mov_b32_dpp v33, v4 row_shl:4 row_mask:0xf bank_mask:0x5 bound_ctrl:1
	v_cndmask_b32_e32 v1, v35, v1, vcc
	s_add_u32 s0, s0, s6
	v_mov_b32_dpp v33, v4 row_shr:4 row_mask:0xf bank_mask:0xa bound_ctrl:1
	v_sub_f32_e32 v34, v33, v4
	v_add_f32_e32 v4, v4, v33
	v_mov_b32_dpp v33, v5 row_shl:4 row_mask:0xf bank_mask:0x5 bound_ctrl:1
	v_cndmask_b32_e32 v4, v34, v4, vcc
	s_mov_b32 s4, 0x3d000000
	v_mov_b32_dpp v33, v5 row_shr:4 row_mask:0xf bank_mask:0xa bound_ctrl:1
	v_sub_f32_e32 v34, v33, v5
	v_add_f32_e32 v5, v5, v33
	v_mov_b32_dpp v33, v8 row_shl:4 row_mask:0xf bank_mask:0x5 bound_ctrl:1
	v_cndmask_b32_e32 v5, v34, v5, vcc
	s_addc_u32 s1, s1, s7
	v_mov_b32_dpp v33, v8 row_shr:4 row_mask:0xf bank_mask:0xa bound_ctrl:1
	v_sub_f32_e32 v34, v33, v8
	v_add_f32_e32 v8, v8, v33
	v_mov_b32_dpp v33, v9 row_shl:4 row_mask:0xf bank_mask:0x5 bound_ctrl:1
	v_cndmask_b32_e32 v8, v34, v8, vcc
	s_lshl_b32 s2, s12, 11
	v_mov_b32_dpp v33, v9 row_shr:4 row_mask:0xf bank_mask:0xa bound_ctrl:1
	v_sub_f32_e32 v34, v33, v9
	v_add_f32_e32 v9, v9, v33
	v_mov_b32_dpp v33, v24 row_shl:4 row_mask:0xf bank_mask:0x5 bound_ctrl:1
	v_cndmask_b32_e32 v9, v34, v9, vcc
	s_and_b32 s1, s1, 0xffff
	v_mov_b32_dpp v33, v24 row_shr:4 row_mask:0xf bank_mask:0xa bound_ctrl:1
	v_sub_f32_e32 v34, v33, v24
	v_add_f32_e32 v24, v24, v33
	v_mov_b32_dpp v33, v14 row_shl:4 row_mask:0xf bank_mask:0x5 bound_ctrl:1
	v_cndmask_b32_e32 v24, v34, v24, vcc
	s_mov_b32 s3, 0x20000
	v_mov_b32_dpp v33, v14 row_shr:4 row_mask:0xf bank_mask:0xa bound_ctrl:1
	v_sub_f32_e32 v34, v33, v14
	v_add_f32_e32 v14, v14, v33
	v_mov_b32_dpp v33, v15 row_shl:4 row_mask:0xf bank_mask:0x5 bound_ctrl:1
	v_cndmask_b32_e32 v14, v34, v14, vcc
	s_nop 0
	v_mov_b32_dpp v33, v15 row_shr:4 row_mask:0xf bank_mask:0xa bound_ctrl:1
	v_sub_f32_e32 v34, v33, v15
	v_add_f32_e32 v15, v15, v33
	v_mov_b32_dpp v33, v25 row_shl:4 row_mask:0xf bank_mask:0x5 bound_ctrl:1
	v_cndmask_b32_e32 v15, v34, v15, vcc
	s_nop 0
	;; [unrolled: 6-line block ×25, first 2 shown]
	v_mov_b32_dpp v33, v3 row_shr:4 row_mask:0xf bank_mask:0xa bound_ctrl:1
	v_sub_f32_e32 v34, v33, v3
	v_add_f32_e32 v3, v3, v33
	v_and_b32_e32 v33, 8, v0
	v_cndmask_b32_e32 v3, v34, v3, vcc
	v_cmp_eq_u32_e32 vcc, 0, v33
	v_sub_f32_dpp v33, v4, v4 row_ror:8 row_mask:0xf bank_mask:0xf bound_ctrl:1
	v_add_f32_dpp v4, v4, v4 row_ror:8 row_mask:0xf bank_mask:0xf bound_ctrl:1
	v_cndmask_b32_e32 v4, v33, v4, vcc
	v_sub_f32_dpp v33, v5, v5 row_ror:8 row_mask:0xf bank_mask:0xf bound_ctrl:1
	v_add_f32_dpp v5, v5, v5 row_ror:8 row_mask:0xf bank_mask:0xf bound_ctrl:1
	v_cndmask_b32_e32 v5, v33, v5, vcc
	;; [unrolled: 3-line block ×13, first 2 shown]
	v_sub_f32_dpp v33, v6, v6 row_ror:8 row_mask:0xf bank_mask:0xf bound_ctrl:1
	v_add_f32_dpp v6, v6, v6 row_ror:8 row_mask:0xf bank_mask:0xf bound_ctrl:1
	v_sub_f32_dpp v34, v1, v1 row_ror:8 row_mask:0xf bank_mask:0xf bound_ctrl:1
	v_add_f32_dpp v1, v1, v1 row_ror:8 row_mask:0xf bank_mask:0xf bound_ctrl:1
	v_cndmask_b32_e32 v33, v33, v6, vcc
	v_sub_f32_dpp v6, v7, v7 row_ror:8 row_mask:0xf bank_mask:0xf bound_ctrl:1
	v_add_f32_dpp v7, v7, v7 row_ror:8 row_mask:0xf bank_mask:0xf bound_ctrl:1
	v_cndmask_b32_e32 v1, v34, v1, vcc
	v_cndmask_b32_e32 v34, v6, v7, vcc
	v_sub_f32_dpp v6, v18, v18 row_ror:8 row_mask:0xf bank_mask:0xf bound_ctrl:1
	v_add_f32_dpp v7, v18, v18 row_ror:8 row_mask:0xf bank_mask:0xf bound_ctrl:1
	v_cndmask_b32_e32 v18, v6, v7, vcc
	v_sub_f32_dpp v6, v19, v19 row_ror:8 row_mask:0xf bank_mask:0xf bound_ctrl:1
	v_add_f32_dpp v7, v19, v19 row_ror:8 row_mask:0xf bank_mask:0xf bound_ctrl:1
	v_cndmask_b32_e32 v19, v6, v7, vcc
	v_sub_f32_dpp v6, v28, v28 row_ror:8 row_mask:0xf bank_mask:0xf bound_ctrl:1
	v_add_f32_dpp v7, v28, v28 row_ror:8 row_mask:0xf bank_mask:0xf bound_ctrl:1
	v_cndmask_b32_e32 v28, v6, v7, vcc
	v_sub_f32_dpp v6, v29, v29 row_ror:8 row_mask:0xf bank_mask:0xf bound_ctrl:1
	v_add_f32_dpp v7, v29, v29 row_ror:8 row_mask:0xf bank_mask:0xf bound_ctrl:1
	v_cndmask_b32_e32 v29, v6, v7, vcc
	v_sub_f32_dpp v6, v31, v31 row_ror:8 row_mask:0xf bank_mask:0xf bound_ctrl:1
	v_add_f32_dpp v7, v31, v31 row_ror:8 row_mask:0xf bank_mask:0xf bound_ctrl:1
	v_cndmask_b32_e32 v31, v6, v7, vcc
	v_sub_f32_dpp v6, v32, v32 row_ror:8 row_mask:0xf bank_mask:0xf bound_ctrl:1
	v_add_f32_dpp v7, v32, v32 row_ror:8 row_mask:0xf bank_mask:0xf bound_ctrl:1
	v_cndmask_b32_e32 v32, v6, v7, vcc
	v_sub_f32_dpp v6, v10, v10 row_ror:8 row_mask:0xf bank_mask:0xf bound_ctrl:1
	v_add_f32_dpp v7, v10, v10 row_ror:8 row_mask:0xf bank_mask:0xf bound_ctrl:1
	v_cndmask_b32_e32 v35, v6, v7, vcc
	v_sub_f32_dpp v6, v11, v11 row_ror:8 row_mask:0xf bank_mask:0xf bound_ctrl:1
	v_add_f32_dpp v7, v11, v11 row_ror:8 row_mask:0xf bank_mask:0xf bound_ctrl:1
	v_cndmask_b32_e32 v36, v6, v7, vcc
	v_sub_f32_dpp v6, v12, v12 row_ror:8 row_mask:0xf bank_mask:0xf bound_ctrl:1
	v_add_f32_dpp v7, v12, v12 row_ror:8 row_mask:0xf bank_mask:0xf bound_ctrl:1
	v_cndmask_b32_e32 v37, v6, v7, vcc
	v_sub_f32_dpp v6, v13, v13 row_ror:8 row_mask:0xf bank_mask:0xf bound_ctrl:1
	v_add_f32_dpp v7, v13, v13 row_ror:8 row_mask:0xf bank_mask:0xf bound_ctrl:1
	v_cndmask_b32_e32 v38, v6, v7, vcc
	v_sub_f32_dpp v6, v16, v16 row_ror:8 row_mask:0xf bank_mask:0xf bound_ctrl:1
	v_add_f32_dpp v7, v16, v16 row_ror:8 row_mask:0xf bank_mask:0xf bound_ctrl:1
	v_cndmask_b32_e32 v39, v6, v7, vcc
	v_sub_f32_dpp v6, v17, v17 row_ror:8 row_mask:0xf bank_mask:0xf bound_ctrl:1
	v_add_f32_dpp v7, v17, v17 row_ror:8 row_mask:0xf bank_mask:0xf bound_ctrl:1
	v_cndmask_b32_e32 v40, v6, v7, vcc
	v_sub_f32_dpp v6, v20, v20 row_ror:8 row_mask:0xf bank_mask:0xf bound_ctrl:1
	v_add_f32_dpp v7, v20, v20 row_ror:8 row_mask:0xf bank_mask:0xf bound_ctrl:1
	v_cndmask_b32_e32 v41, v6, v7, vcc
	v_sub_f32_dpp v6, v21, v21 row_ror:8 row_mask:0xf bank_mask:0xf bound_ctrl:1
	v_add_f32_dpp v7, v21, v21 row_ror:8 row_mask:0xf bank_mask:0xf bound_ctrl:1
	v_cndmask_b32_e32 v42, v6, v7, vcc
	v_sub_f32_dpp v6, v2, v2 row_ror:8 row_mask:0xf bank_mask:0xf bound_ctrl:1
	v_add_f32_dpp v2, v2, v2 row_ror:8 row_mask:0xf bank_mask:0xf bound_ctrl:1
	v_cndmask_b32_e32 v43, v6, v2, vcc
	v_mbcnt_lo_u32_b32 v2, -1, 0
	v_mbcnt_hi_u32_b32 v2, -1, v2
	v_lshlrev_b32_e32 v2, 2, v2
	v_xor_b32_e32 v44, 64, v2
	ds_bpermute_b32 v2, v44, v1
	v_sub_f32_dpp v6, v3, v3 row_ror:8 row_mask:0xf bank_mask:0xf bound_ctrl:1
	v_add_f32_dpp v3, v3, v3 row_ror:8 row_mask:0xf bank_mask:0xf bound_ctrl:1
	v_cndmask_b32_e32 v45, v6, v3, vcc
	ds_bpermute_b32 v6, v44, v4
	s_waitcnt lgkmcnt(1)
	v_sub_f32_e32 v3, v2, v1
	v_add_f32_e32 v1, v1, v2
	ds_bpermute_b32 v2, v44, v5
	v_and_b32_e32 v0, 16, v0
	v_cmp_eq_u32_e32 vcc, 0, v0
	v_cndmask_b32_e32 v0, v3, v1, vcc
	s_waitcnt lgkmcnt(1)
	v_sub_f32_e32 v1, v6, v4
	v_add_f32_e32 v3, v4, v6
	v_cndmask_b32_e32 v1, v1, v3, vcc
	ds_bpermute_b32 v3, v44, v8
	s_waitcnt lgkmcnt(1)
	v_sub_f32_e32 v4, v2, v5
	v_add_f32_e32 v2, v5, v2
	v_cndmask_b32_e32 v2, v4, v2, vcc
	ds_bpermute_b32 v4, v44, v9
	;; [unrolled: 5-line block ×15, first 2 shown]
	s_waitcnt lgkmcnt(1)
	v_sub_f32_e32 v20, v16, v18
	v_add_f32_e32 v16, v18, v16
	ds_bpermute_b32 v18, v44, v28
	v_cndmask_b32_e32 v16, v20, v16, vcc
	s_waitcnt lgkmcnt(1)
	v_sub_f32_e32 v20, v17, v19
	v_add_f32_e32 v17, v19, v17
	v_cndmask_b32_e32 v17, v20, v17, vcc
	ds_bpermute_b32 v19, v44, v29
	s_waitcnt lgkmcnt(1)
	v_sub_f32_e32 v20, v18, v28
	v_add_f32_e32 v18, v28, v18
	v_cndmask_b32_e32 v18, v20, v18, vcc
	ds_bpermute_b32 v20, v44, v31
	s_waitcnt lgkmcnt(1)
	v_sub_f32_e32 v21, v19, v29
	v_add_f32_e32 v19, v29, v19
	v_cndmask_b32_e32 v19, v21, v19, vcc
	ds_bpermute_b32 v21, v44, v32
	s_waitcnt lgkmcnt(1)
	v_sub_f32_e32 v22, v20, v31
	v_add_f32_e32 v20, v31, v20
	v_cndmask_b32_e32 v20, v22, v20, vcc
	ds_bpermute_b32 v22, v44, v35
	s_waitcnt lgkmcnt(1)
	v_sub_f32_e32 v23, v21, v32
	v_add_f32_e32 v21, v32, v21
	v_cndmask_b32_e32 v21, v23, v21, vcc
	ds_bpermute_b32 v23, v44, v36
	s_waitcnt lgkmcnt(1)
	v_sub_f32_e32 v24, v22, v35
	v_add_f32_e32 v22, v35, v22
	v_cndmask_b32_e32 v22, v24, v22, vcc
	ds_bpermute_b32 v24, v44, v37
	s_waitcnt lgkmcnt(1)
	v_sub_f32_e32 v25, v23, v36
	v_add_f32_e32 v23, v36, v23
	v_cndmask_b32_e32 v23, v25, v23, vcc
	ds_bpermute_b32 v25, v44, v38
	s_waitcnt lgkmcnt(1)
	v_sub_f32_e32 v26, v24, v37
	v_add_f32_e32 v24, v37, v24
	v_cndmask_b32_e32 v24, v26, v24, vcc
	ds_bpermute_b32 v26, v44, v39
	s_waitcnt lgkmcnt(1)
	v_sub_f32_e32 v27, v25, v38
	v_add_f32_e32 v25, v38, v25
	v_cndmask_b32_e32 v25, v27, v25, vcc
	ds_bpermute_b32 v27, v44, v40
	s_waitcnt lgkmcnt(1)
	v_sub_f32_e32 v28, v26, v39
	v_add_f32_e32 v26, v39, v26
	v_cndmask_b32_e32 v26, v28, v26, vcc
	ds_bpermute_b32 v28, v44, v41
	s_waitcnt lgkmcnt(1)
	v_sub_f32_e32 v29, v27, v40
	v_add_f32_e32 v27, v40, v27
	v_cndmask_b32_e32 v27, v29, v27, vcc
	ds_bpermute_b32 v29, v44, v42
	s_waitcnt lgkmcnt(1)
	v_sub_f32_e32 v30, v28, v41
	v_add_f32_e32 v28, v41, v28
	v_cndmask_b32_e32 v28, v30, v28, vcc
	ds_bpermute_b32 v30, v44, v43
	ds_bpermute_b32 v32, v44, v45
	s_waitcnt lgkmcnt(2)
	v_sub_f32_e32 v31, v29, v42
	v_add_f32_e32 v29, v42, v29
	v_cndmask_b32_e32 v29, v31, v29, vcc
	s_waitcnt lgkmcnt(1)
	v_sub_f32_e32 v31, v30, v43
	v_add_f32_e32 v30, v43, v30
	v_cndmask_b32_e32 v30, v31, v30, vcc
	;; [unrolled: 4-line block ×3, first 2 shown]
	v_pk_mul_f32 v[32:33], v[0:1], s[4:5] op_sel_hi:[1,0]
	v_pk_mul_f32 v[0:1], v[2:3], s[4:5] op_sel_hi:[1,0]
	;; [unrolled: 1-line block ×4, first 2 shown]
	s_mov_b32 s5, 0x7060302
	v_perm_b32 v3, v3, v2, s5
	v_perm_b32 v2, v5, v4, s5
	;; [unrolled: 1-line block ×4, first 2 shown]
	buffer_store_dwordx4 v[0:3], v80, s[0:3], 0 offen
	v_pk_mul_f32 v[4:5], v[6:7], s[4:5] op_sel_hi:[1,0]
	v_pk_mul_f32 v[0:1], v[10:11], s[4:5] op_sel_hi:[1,0]
	v_pk_mul_f32 v[6:7], v[12:13], s[4:5] op_sel_hi:[1,0]
	v_pk_mul_f32 v[2:3], v[14:15], s[4:5] op_sel_hi:[1,0]
	v_perm_b32 v3, v3, v2, s5
	v_perm_b32 v2, v7, v6, s5
	v_perm_b32 v1, v1, v0, s5
	v_perm_b32 v0, v5, v4, s5
	;;#ASMSTART
	s_nop 0
	;;#ASMEND
	buffer_store_dwordx4 v[0:3], v80, s[0:3], 16 offen
	v_pk_mul_f32 v[4:5], v[16:17], s[4:5] op_sel_hi:[1,0]
	v_pk_mul_f32 v[0:1], v[18:19], s[4:5] op_sel_hi:[1,0]
	v_pk_mul_f32 v[6:7], v[20:21], s[4:5] op_sel_hi:[1,0]
	v_pk_mul_f32 v[2:3], v[22:23], s[4:5] op_sel_hi:[1,0]
	v_perm_b32 v3, v3, v2, s5
	v_perm_b32 v2, v7, v6, s5
	v_perm_b32 v1, v1, v0, s5
	v_perm_b32 v0, v5, v4, s5
	;;#ASMSTART
	s_nop 0
	;;#ASMEND
	;; [unrolled: 12-line block ×3, first 2 shown]
	buffer_store_dwordx4 v[0:3], v80, s[0:3], 48 offen
	;;#ASMSTART
	s_nop 0
	;;#ASMEND
	s_endpgm
	.section	.rodata,"a",@progbits
	.p2align	6, 0x0
	.amdhsa_kernel _ZN5aiter55rope_hadamard_rotate_activation_fp4quant_inplace_kernelItLi1024ELb0ELi32EEEvPT_PKS1_S4_S4_PKliiiii
		.amdhsa_group_segment_fixed_size 0
		.amdhsa_private_segment_fixed_size 0
		.amdhsa_kernarg_size 60
		.amdhsa_user_sgpr_count 6
		.amdhsa_user_sgpr_private_segment_buffer 1
		.amdhsa_user_sgpr_dispatch_ptr 0
		.amdhsa_user_sgpr_queue_ptr 0
		.amdhsa_user_sgpr_kernarg_segment_ptr 1
		.amdhsa_user_sgpr_dispatch_id 0
		.amdhsa_user_sgpr_flat_scratch_init 0
		.amdhsa_user_sgpr_kernarg_preload_length 0
		.amdhsa_user_sgpr_kernarg_preload_offset 0
		.amdhsa_user_sgpr_private_segment_size 0
		.amdhsa_uses_dynamic_stack 0
		.amdhsa_system_sgpr_private_segment_wavefront_offset 0
		.amdhsa_system_sgpr_workgroup_id_x 1
		.amdhsa_system_sgpr_workgroup_id_y 0
		.amdhsa_system_sgpr_workgroup_id_z 0
		.amdhsa_system_sgpr_workgroup_info 0
		.amdhsa_system_vgpr_workitem_id 0
		.amdhsa_next_free_vgpr 98
		.amdhsa_next_free_sgpr 20
		.amdhsa_accum_offset 100
		.amdhsa_reserve_vcc 1
		.amdhsa_reserve_flat_scratch 0
		.amdhsa_float_round_mode_32 0
		.amdhsa_float_round_mode_16_64 0
		.amdhsa_float_denorm_mode_32 3
		.amdhsa_float_denorm_mode_16_64 3
		.amdhsa_dx10_clamp 1
		.amdhsa_ieee_mode 1
		.amdhsa_fp16_overflow 0
		.amdhsa_tg_split 0
		.amdhsa_exception_fp_ieee_invalid_op 0
		.amdhsa_exception_fp_denorm_src 0
		.amdhsa_exception_fp_ieee_div_zero 0
		.amdhsa_exception_fp_ieee_overflow 0
		.amdhsa_exception_fp_ieee_underflow 0
		.amdhsa_exception_fp_ieee_inexact 0
		.amdhsa_exception_int_div_zero 0
	.end_amdhsa_kernel
	.section	.text._ZN5aiter55rope_hadamard_rotate_activation_fp4quant_inplace_kernelItLi1024ELb0ELi32EEEvPT_PKS1_S4_S4_PKliiiii,"axG",@progbits,_ZN5aiter55rope_hadamard_rotate_activation_fp4quant_inplace_kernelItLi1024ELb0ELi32EEEvPT_PKS1_S4_S4_PKliiiii,comdat
.Lfunc_end32:
	.size	_ZN5aiter55rope_hadamard_rotate_activation_fp4quant_inplace_kernelItLi1024ELb0ELi32EEEvPT_PKS1_S4_S4_PKliiiii, .Lfunc_end32-_ZN5aiter55rope_hadamard_rotate_activation_fp4quant_inplace_kernelItLi1024ELb0ELi32EEEvPT_PKS1_S4_S4_PKliiiii
                                        ; -- End function
	.section	.AMDGPU.csdata,"",@progbits
; Kernel info:
; codeLenInByte = 6792
; NumSgprs: 24
; NumVgprs: 98
; NumAgprs: 0
; TotalNumVgprs: 98
; ScratchSize: 0
; MemoryBound: 0
; FloatMode: 240
; IeeeMode: 1
; LDSByteSize: 0 bytes/workgroup (compile time only)
; SGPRBlocks: 2
; VGPRBlocks: 12
; NumSGPRsForWavesPerEU: 24
; NumVGPRsForWavesPerEU: 98
; AccumOffset: 100
; Occupancy: 4
; WaveLimiterHint : 1
; COMPUTE_PGM_RSRC2:SCRATCH_EN: 0
; COMPUTE_PGM_RSRC2:USER_SGPR: 6
; COMPUTE_PGM_RSRC2:TRAP_HANDLER: 0
; COMPUTE_PGM_RSRC2:TGID_X_EN: 1
; COMPUTE_PGM_RSRC2:TGID_Y_EN: 0
; COMPUTE_PGM_RSRC2:TGID_Z_EN: 0
; COMPUTE_PGM_RSRC2:TIDIG_COMP_CNT: 0
; COMPUTE_PGM_RSRC3_GFX90A:ACCUM_OFFSET: 24
; COMPUTE_PGM_RSRC3_GFX90A:TG_SPLIT: 0
	.text
	.p2alignl 6, 3212836864
	.fill 256, 4, 3212836864
	.type	__hip_cuid_64f78342dcd63220,@object ; @__hip_cuid_64f78342dcd63220
	.section	.bss,"aw",@nobits
	.globl	__hip_cuid_64f78342dcd63220
__hip_cuid_64f78342dcd63220:
	.byte	0                               ; 0x0
	.size	__hip_cuid_64f78342dcd63220, 1

	.ident	"AMD clang version 19.0.0git (https://github.com/RadeonOpenCompute/llvm-project roc-6.4.0 25133 c7fe45cf4b819c5991fe208aaa96edf142730f1d)"
	.section	".note.GNU-stack","",@progbits
	.addrsig
	.addrsig_sym __hip_cuid_64f78342dcd63220
	.amdgpu_metadata
---
amdhsa.kernels:
  - .agpr_count:     0
    .args:           []
    .group_segment_fixed_size: 0
    .kernarg_segment_align: 4
    .kernarg_segment_size: 0
    .language:       OpenCL C
    .language_version:
      - 2
      - 0
    .max_flat_workgroup_size: 1024
    .name:           _ZN7ck_tileL11flush_cacheEv
    .private_segment_fixed_size: 0
    .sgpr_count:     4
    .sgpr_spill_count: 0
    .symbol:         _ZN7ck_tileL11flush_cacheEv.kd
    .uniform_work_group_size: 1
    .uses_dynamic_stack: false
    .vgpr_count:     0
    .vgpr_spill_count: 0
    .wavefront_size: 64
  - .agpr_count:     0
    .args:
      - .actual_access:  write_only
        .address_space:  global
        .offset:         0
        .size:           8
        .value_kind:     global_buffer
      - .actual_access:  read_only
        .address_space:  global
        .offset:         8
        .size:           8
        .value_kind:     global_buffer
      - .offset:         16
        .size:           4
        .value_kind:     by_value
      - .offset:         20
        .size:           4
        .value_kind:     by_value
      - .offset:         24
        .size:           4
        .value_kind:     by_value
    .group_segment_fixed_size: 0
    .kernarg_segment_align: 8
    .kernarg_segment_size: 28
    .language:       OpenCL C
    .language_version:
      - 2
      - 0
    .max_flat_workgroup_size: 1024
    .name:           _ZN5aiter50hadamard_rotate_activation_fp4quant_inplace_kernelIDF16_Li128ELb1ELi16EEEvPT_PKS1_iii
    .private_segment_fixed_size: 0
    .sgpr_count:     14
    .sgpr_spill_count: 0
    .symbol:         _ZN5aiter50hadamard_rotate_activation_fp4quant_inplace_kernelIDF16_Li128ELb1ELi16EEEvPT_PKS1_iii.kd
    .uniform_work_group_size: 1
    .uses_dynamic_stack: false
    .vgpr_count:     5
    .vgpr_spill_count: 0
    .wavefront_size: 64
  - .agpr_count:     0
    .args:
      - .actual_access:  write_only
        .address_space:  global
        .offset:         0
        .size:           8
        .value_kind:     global_buffer
      - .actual_access:  read_only
        .address_space:  global
        .offset:         8
        .size:           8
        .value_kind:     global_buffer
      - .offset:         16
        .size:           4
        .value_kind:     by_value
      - .offset:         20
        .size:           4
        .value_kind:     by_value
      - .offset:         24
        .size:           4
        .value_kind:     by_value
    .group_segment_fixed_size: 0
    .kernarg_segment_align: 8
    .kernarg_segment_size: 28
    .language:       OpenCL C
    .language_version:
      - 2
      - 0
    .max_flat_workgroup_size: 1024
    .name:           _ZN5aiter50hadamard_rotate_activation_fp4quant_inplace_kernelItLi128ELb1ELi16EEEvPT_PKS1_iii
    .private_segment_fixed_size: 0
    .sgpr_count:     14
    .sgpr_spill_count: 0
    .symbol:         _ZN5aiter50hadamard_rotate_activation_fp4quant_inplace_kernelItLi128ELb1ELi16EEEvPT_PKS1_iii.kd
    .uniform_work_group_size: 1
    .uses_dynamic_stack: false
    .vgpr_count:     5
    .vgpr_spill_count: 0
    .wavefront_size: 64
  - .agpr_count:     0
    .args:
      - .actual_access:  write_only
        .address_space:  global
        .offset:         0
        .size:           8
        .value_kind:     global_buffer
      - .actual_access:  read_only
        .address_space:  global
        .offset:         8
        .size:           8
        .value_kind:     global_buffer
      - .offset:         16
        .size:           4
        .value_kind:     by_value
      - .offset:         20
        .size:           4
        .value_kind:     by_value
      - .offset:         24
        .size:           4
        .value_kind:     by_value
    .group_segment_fixed_size: 0
    .kernarg_segment_align: 8
    .kernarg_segment_size: 28
    .language:       OpenCL C
    .language_version:
      - 2
      - 0
    .max_flat_workgroup_size: 1024
    .name:           _ZN5aiter50hadamard_rotate_activation_fp4quant_inplace_kernelIDF16_Li256ELb1ELi16EEEvPT_PKS1_iii
    .private_segment_fixed_size: 0
    .sgpr_count:     14
    .sgpr_spill_count: 0
    .symbol:         _ZN5aiter50hadamard_rotate_activation_fp4quant_inplace_kernelIDF16_Li256ELb1ELi16EEEvPT_PKS1_iii.kd
    .uniform_work_group_size: 1
    .uses_dynamic_stack: false
    .vgpr_count:     5
    .vgpr_spill_count: 0
    .wavefront_size: 64
  - .agpr_count:     0
    .args:
      - .actual_access:  write_only
        .address_space:  global
        .offset:         0
        .size:           8
        .value_kind:     global_buffer
      - .actual_access:  read_only
        .address_space:  global
        .offset:         8
        .size:           8
        .value_kind:     global_buffer
      - .offset:         16
        .size:           4
        .value_kind:     by_value
      - .offset:         20
        .size:           4
        .value_kind:     by_value
      - .offset:         24
        .size:           4
        .value_kind:     by_value
    .group_segment_fixed_size: 0
    .kernarg_segment_align: 8
    .kernarg_segment_size: 28
    .language:       OpenCL C
    .language_version:
      - 2
      - 0
    .max_flat_workgroup_size: 1024
    .name:           _ZN5aiter50hadamard_rotate_activation_fp4quant_inplace_kernelItLi256ELb1ELi16EEEvPT_PKS1_iii
    .private_segment_fixed_size: 0
    .sgpr_count:     14
    .sgpr_spill_count: 0
    .symbol:         _ZN5aiter50hadamard_rotate_activation_fp4quant_inplace_kernelItLi256ELb1ELi16EEEvPT_PKS1_iii.kd
    .uniform_work_group_size: 1
    .uses_dynamic_stack: false
    .vgpr_count:     5
    .vgpr_spill_count: 0
    .wavefront_size: 64
  - .agpr_count:     0
    .args:
      - .actual_access:  write_only
        .address_space:  global
        .offset:         0
        .size:           8
        .value_kind:     global_buffer
      - .actual_access:  read_only
        .address_space:  global
        .offset:         8
        .size:           8
        .value_kind:     global_buffer
      - .offset:         16
        .size:           4
        .value_kind:     by_value
      - .offset:         20
        .size:           4
        .value_kind:     by_value
      - .offset:         24
        .size:           4
        .value_kind:     by_value
    .group_segment_fixed_size: 0
    .kernarg_segment_align: 8
    .kernarg_segment_size: 28
    .language:       OpenCL C
    .language_version:
      - 2
      - 0
    .max_flat_workgroup_size: 1024
    .name:           _ZN5aiter50hadamard_rotate_activation_fp4quant_inplace_kernelIDF16_Li512ELb1ELi16EEEvPT_PKS1_iii
    .private_segment_fixed_size: 0
    .sgpr_count:     14
    .sgpr_spill_count: 0
    .symbol:         _ZN5aiter50hadamard_rotate_activation_fp4quant_inplace_kernelIDF16_Li512ELb1ELi16EEEvPT_PKS1_iii.kd
    .uniform_work_group_size: 1
    .uses_dynamic_stack: false
    .vgpr_count:     5
    .vgpr_spill_count: 0
    .wavefront_size: 64
  - .agpr_count:     0
    .args:
      - .actual_access:  write_only
        .address_space:  global
        .offset:         0
        .size:           8
        .value_kind:     global_buffer
      - .actual_access:  read_only
        .address_space:  global
        .offset:         8
        .size:           8
        .value_kind:     global_buffer
      - .offset:         16
        .size:           4
        .value_kind:     by_value
      - .offset:         20
        .size:           4
        .value_kind:     by_value
      - .offset:         24
        .size:           4
        .value_kind:     by_value
    .group_segment_fixed_size: 0
    .kernarg_segment_align: 8
    .kernarg_segment_size: 28
    .language:       OpenCL C
    .language_version:
      - 2
      - 0
    .max_flat_workgroup_size: 1024
    .name:           _ZN5aiter50hadamard_rotate_activation_fp4quant_inplace_kernelItLi512ELb1ELi16EEEvPT_PKS1_iii
    .private_segment_fixed_size: 0
    .sgpr_count:     14
    .sgpr_spill_count: 0
    .symbol:         _ZN5aiter50hadamard_rotate_activation_fp4quant_inplace_kernelItLi512ELb1ELi16EEEvPT_PKS1_iii.kd
    .uniform_work_group_size: 1
    .uses_dynamic_stack: false
    .vgpr_count:     5
    .vgpr_spill_count: 0
    .wavefront_size: 64
  - .agpr_count:     0
    .args:
      - .actual_access:  write_only
        .address_space:  global
        .offset:         0
        .size:           8
        .value_kind:     global_buffer
      - .actual_access:  read_only
        .address_space:  global
        .offset:         8
        .size:           8
        .value_kind:     global_buffer
      - .offset:         16
        .size:           4
        .value_kind:     by_value
      - .offset:         20
        .size:           4
        .value_kind:     by_value
      - .offset:         24
        .size:           4
        .value_kind:     by_value
    .group_segment_fixed_size: 0
    .kernarg_segment_align: 8
    .kernarg_segment_size: 28
    .language:       OpenCL C
    .language_version:
      - 2
      - 0
    .max_flat_workgroup_size: 1024
    .name:           _ZN5aiter50hadamard_rotate_activation_fp4quant_inplace_kernelIDF16_Li1024ELb1ELi32EEEvPT_PKS1_iii
    .private_segment_fixed_size: 0
    .sgpr_count:     14
    .sgpr_spill_count: 0
    .symbol:         _ZN5aiter50hadamard_rotate_activation_fp4quant_inplace_kernelIDF16_Li1024ELb1ELi32EEEvPT_PKS1_iii.kd
    .uniform_work_group_size: 1
    .uses_dynamic_stack: false
    .vgpr_count:     5
    .vgpr_spill_count: 0
    .wavefront_size: 64
  - .agpr_count:     0
    .args:
      - .actual_access:  write_only
        .address_space:  global
        .offset:         0
        .size:           8
        .value_kind:     global_buffer
      - .actual_access:  read_only
        .address_space:  global
        .offset:         8
        .size:           8
        .value_kind:     global_buffer
      - .offset:         16
        .size:           4
        .value_kind:     by_value
      - .offset:         20
        .size:           4
        .value_kind:     by_value
      - .offset:         24
        .size:           4
        .value_kind:     by_value
    .group_segment_fixed_size: 0
    .kernarg_segment_align: 8
    .kernarg_segment_size: 28
    .language:       OpenCL C
    .language_version:
      - 2
      - 0
    .max_flat_workgroup_size: 1024
    .name:           _ZN5aiter50hadamard_rotate_activation_fp4quant_inplace_kernelItLi1024ELb1ELi32EEEvPT_PKS1_iii
    .private_segment_fixed_size: 0
    .sgpr_count:     14
    .sgpr_spill_count: 0
    .symbol:         _ZN5aiter50hadamard_rotate_activation_fp4quant_inplace_kernelItLi1024ELb1ELi32EEEvPT_PKS1_iii.kd
    .uniform_work_group_size: 1
    .uses_dynamic_stack: false
    .vgpr_count:     5
    .vgpr_spill_count: 0
    .wavefront_size: 64
  - .agpr_count:     0
    .args:
      - .actual_access:  write_only
        .address_space:  global
        .offset:         0
        .size:           8
        .value_kind:     global_buffer
      - .actual_access:  read_only
        .address_space:  global
        .offset:         8
        .size:           8
        .value_kind:     global_buffer
      - .offset:         16
        .size:           4
        .value_kind:     by_value
      - .offset:         20
        .size:           4
        .value_kind:     by_value
      - .offset:         24
        .size:           4
        .value_kind:     by_value
    .group_segment_fixed_size: 0
    .kernarg_segment_align: 8
    .kernarg_segment_size: 28
    .language:       OpenCL C
    .language_version:
      - 2
      - 0
    .max_flat_workgroup_size: 1024
    .name:           _ZN5aiter50hadamard_rotate_activation_fp4quant_inplace_kernelIDF16_Li128ELb0ELi16EEEvPT_PKS1_iii
    .private_segment_fixed_size: 0
    .sgpr_count:     16
    .sgpr_spill_count: 0
    .symbol:         _ZN5aiter50hadamard_rotate_activation_fp4quant_inplace_kernelIDF16_Li128ELb0ELi16EEEvPT_PKS1_iii.kd
    .uniform_work_group_size: 1
    .uses_dynamic_stack: false
    .vgpr_count:     42
    .vgpr_spill_count: 0
    .wavefront_size: 64
  - .agpr_count:     0
    .args:
      - .actual_access:  write_only
        .address_space:  global
        .offset:         0
        .size:           8
        .value_kind:     global_buffer
      - .actual_access:  read_only
        .address_space:  global
        .offset:         8
        .size:           8
        .value_kind:     global_buffer
      - .offset:         16
        .size:           4
        .value_kind:     by_value
      - .offset:         20
        .size:           4
        .value_kind:     by_value
      - .offset:         24
        .size:           4
        .value_kind:     by_value
    .group_segment_fixed_size: 0
    .kernarg_segment_align: 8
    .kernarg_segment_size: 28
    .language:       OpenCL C
    .language_version:
      - 2
      - 0
    .max_flat_workgroup_size: 1024
    .name:           _ZN5aiter50hadamard_rotate_activation_fp4quant_inplace_kernelItLi128ELb0ELi16EEEvPT_PKS1_iii
    .private_segment_fixed_size: 0
    .sgpr_count:     16
    .sgpr_spill_count: 0
    .symbol:         _ZN5aiter50hadamard_rotate_activation_fp4quant_inplace_kernelItLi128ELb0ELi16EEEvPT_PKS1_iii.kd
    .uniform_work_group_size: 1
    .uses_dynamic_stack: false
    .vgpr_count:     42
    .vgpr_spill_count: 0
    .wavefront_size: 64
  - .agpr_count:     0
    .args:
      - .actual_access:  write_only
        .address_space:  global
        .offset:         0
        .size:           8
        .value_kind:     global_buffer
      - .actual_access:  read_only
        .address_space:  global
        .offset:         8
        .size:           8
        .value_kind:     global_buffer
      - .offset:         16
        .size:           4
        .value_kind:     by_value
      - .offset:         20
        .size:           4
        .value_kind:     by_value
      - .offset:         24
        .size:           4
        .value_kind:     by_value
    .group_segment_fixed_size: 0
    .kernarg_segment_align: 8
    .kernarg_segment_size: 28
    .language:       OpenCL C
    .language_version:
      - 2
      - 0
    .max_flat_workgroup_size: 1024
    .name:           _ZN5aiter50hadamard_rotate_activation_fp4quant_inplace_kernelIDF16_Li256ELb0ELi16EEEvPT_PKS1_iii
    .private_segment_fixed_size: 0
    .sgpr_count:     16
    .sgpr_spill_count: 0
    .symbol:         _ZN5aiter50hadamard_rotate_activation_fp4quant_inplace_kernelIDF16_Li256ELb0ELi16EEEvPT_PKS1_iii.kd
    .uniform_work_group_size: 1
    .uses_dynamic_stack: false
    .vgpr_count:     42
    .vgpr_spill_count: 0
    .wavefront_size: 64
  - .agpr_count:     0
    .args:
      - .actual_access:  write_only
        .address_space:  global
        .offset:         0
        .size:           8
        .value_kind:     global_buffer
      - .actual_access:  read_only
        .address_space:  global
        .offset:         8
        .size:           8
        .value_kind:     global_buffer
      - .offset:         16
        .size:           4
        .value_kind:     by_value
      - .offset:         20
        .size:           4
        .value_kind:     by_value
      - .offset:         24
        .size:           4
        .value_kind:     by_value
    .group_segment_fixed_size: 0
    .kernarg_segment_align: 8
    .kernarg_segment_size: 28
    .language:       OpenCL C
    .language_version:
      - 2
      - 0
    .max_flat_workgroup_size: 1024
    .name:           _ZN5aiter50hadamard_rotate_activation_fp4quant_inplace_kernelItLi256ELb0ELi16EEEvPT_PKS1_iii
    .private_segment_fixed_size: 0
    .sgpr_count:     16
    .sgpr_spill_count: 0
    .symbol:         _ZN5aiter50hadamard_rotate_activation_fp4quant_inplace_kernelItLi256ELb0ELi16EEEvPT_PKS1_iii.kd
    .uniform_work_group_size: 1
    .uses_dynamic_stack: false
    .vgpr_count:     42
    .vgpr_spill_count: 0
    .wavefront_size: 64
  - .agpr_count:     0
    .args:
      - .actual_access:  write_only
        .address_space:  global
        .offset:         0
        .size:           8
        .value_kind:     global_buffer
      - .actual_access:  read_only
        .address_space:  global
        .offset:         8
        .size:           8
        .value_kind:     global_buffer
      - .offset:         16
        .size:           4
        .value_kind:     by_value
      - .offset:         20
        .size:           4
        .value_kind:     by_value
      - .offset:         24
        .size:           4
        .value_kind:     by_value
    .group_segment_fixed_size: 0
    .kernarg_segment_align: 8
    .kernarg_segment_size: 28
    .language:       OpenCL C
    .language_version:
      - 2
      - 0
    .max_flat_workgroup_size: 1024
    .name:           _ZN5aiter50hadamard_rotate_activation_fp4quant_inplace_kernelIDF16_Li512ELb0ELi16EEEvPT_PKS1_iii
    .private_segment_fixed_size: 0
    .sgpr_count:     16
    .sgpr_spill_count: 0
    .symbol:         _ZN5aiter50hadamard_rotate_activation_fp4quant_inplace_kernelIDF16_Li512ELb0ELi16EEEvPT_PKS1_iii.kd
    .uniform_work_group_size: 1
    .uses_dynamic_stack: false
    .vgpr_count:     42
    .vgpr_spill_count: 0
    .wavefront_size: 64
  - .agpr_count:     0
    .args:
      - .actual_access:  write_only
        .address_space:  global
        .offset:         0
        .size:           8
        .value_kind:     global_buffer
      - .actual_access:  read_only
        .address_space:  global
        .offset:         8
        .size:           8
        .value_kind:     global_buffer
      - .offset:         16
        .size:           4
        .value_kind:     by_value
      - .offset:         20
        .size:           4
        .value_kind:     by_value
      - .offset:         24
        .size:           4
        .value_kind:     by_value
    .group_segment_fixed_size: 0
    .kernarg_segment_align: 8
    .kernarg_segment_size: 28
    .language:       OpenCL C
    .language_version:
      - 2
      - 0
    .max_flat_workgroup_size: 1024
    .name:           _ZN5aiter50hadamard_rotate_activation_fp4quant_inplace_kernelItLi512ELb0ELi16EEEvPT_PKS1_iii
    .private_segment_fixed_size: 0
    .sgpr_count:     16
    .sgpr_spill_count: 0
    .symbol:         _ZN5aiter50hadamard_rotate_activation_fp4quant_inplace_kernelItLi512ELb0ELi16EEEvPT_PKS1_iii.kd
    .uniform_work_group_size: 1
    .uses_dynamic_stack: false
    .vgpr_count:     42
    .vgpr_spill_count: 0
    .wavefront_size: 64
  - .agpr_count:     0
    .args:
      - .actual_access:  write_only
        .address_space:  global
        .offset:         0
        .size:           8
        .value_kind:     global_buffer
      - .actual_access:  read_only
        .address_space:  global
        .offset:         8
        .size:           8
        .value_kind:     global_buffer
      - .offset:         16
        .size:           4
        .value_kind:     by_value
      - .offset:         20
        .size:           4
        .value_kind:     by_value
      - .offset:         24
        .size:           4
        .value_kind:     by_value
    .group_segment_fixed_size: 0
    .kernarg_segment_align: 8
    .kernarg_segment_size: 28
    .language:       OpenCL C
    .language_version:
      - 2
      - 0
    .max_flat_workgroup_size: 1024
    .name:           _ZN5aiter50hadamard_rotate_activation_fp4quant_inplace_kernelIDF16_Li1024ELb0ELi32EEEvPT_PKS1_iii
    .private_segment_fixed_size: 0
    .sgpr_count:     16
    .sgpr_spill_count: 0
    .symbol:         _ZN5aiter50hadamard_rotate_activation_fp4quant_inplace_kernelIDF16_Li1024ELb0ELi32EEEvPT_PKS1_iii.kd
    .uniform_work_group_size: 1
    .uses_dynamic_stack: false
    .vgpr_count:     98
    .vgpr_spill_count: 0
    .wavefront_size: 64
  - .agpr_count:     0
    .args:
      - .actual_access:  write_only
        .address_space:  global
        .offset:         0
        .size:           8
        .value_kind:     global_buffer
      - .actual_access:  read_only
        .address_space:  global
        .offset:         8
        .size:           8
        .value_kind:     global_buffer
      - .offset:         16
        .size:           4
        .value_kind:     by_value
      - .offset:         20
        .size:           4
        .value_kind:     by_value
      - .offset:         24
        .size:           4
        .value_kind:     by_value
    .group_segment_fixed_size: 0
    .kernarg_segment_align: 8
    .kernarg_segment_size: 28
    .language:       OpenCL C
    .language_version:
      - 2
      - 0
    .max_flat_workgroup_size: 1024
    .name:           _ZN5aiter50hadamard_rotate_activation_fp4quant_inplace_kernelItLi1024ELb0ELi32EEEvPT_PKS1_iii
    .private_segment_fixed_size: 0
    .sgpr_count:     16
    .sgpr_spill_count: 0
    .symbol:         _ZN5aiter50hadamard_rotate_activation_fp4quant_inplace_kernelItLi1024ELb0ELi32EEEvPT_PKS1_iii.kd
    .uniform_work_group_size: 1
    .uses_dynamic_stack: false
    .vgpr_count:     98
    .vgpr_spill_count: 0
    .wavefront_size: 64
  - .agpr_count:     0
    .args:
      - .actual_access:  write_only
        .address_space:  global
        .offset:         0
        .size:           8
        .value_kind:     global_buffer
      - .actual_access:  read_only
        .address_space:  global
        .offset:         8
        .size:           8
        .value_kind:     global_buffer
      - .actual_access:  read_only
        .address_space:  global
        .offset:         16
        .size:           8
        .value_kind:     global_buffer
      - .actual_access:  read_only
        .address_space:  global
        .offset:         24
        .size:           8
        .value_kind:     global_buffer
      - .actual_access:  read_only
        .address_space:  global
        .offset:         32
        .size:           8
        .value_kind:     global_buffer
      - .offset:         40
        .size:           4
        .value_kind:     by_value
      - .offset:         44
        .size:           4
        .value_kind:     by_value
      - .offset:         48
        .size:           4
        .value_kind:     by_value
      - .offset:         52
        .size:           4
        .value_kind:     by_value
      - .offset:         56
        .size:           4
        .value_kind:     by_value
    .group_segment_fixed_size: 0
    .kernarg_segment_align: 8
    .kernarg_segment_size: 60
    .language:       OpenCL C
    .language_version:
      - 2
      - 0
    .max_flat_workgroup_size: 1024
    .name:           _ZN5aiter55rope_hadamard_rotate_activation_fp4quant_inplace_kernelIDF16_Li128ELb1ELi16EEEvPT_PKS1_S4_S4_PKliiiii
    .private_segment_fixed_size: 0
    .sgpr_count:     12
    .sgpr_spill_count: 0
    .symbol:         _ZN5aiter55rope_hadamard_rotate_activation_fp4quant_inplace_kernelIDF16_Li128ELb1ELi16EEEvPT_PKS1_S4_S4_PKliiiii.kd
    .uniform_work_group_size: 1
    .uses_dynamic_stack: false
    .vgpr_count:     5
    .vgpr_spill_count: 0
    .wavefront_size: 64
  - .agpr_count:     0
    .args:
      - .actual_access:  write_only
        .address_space:  global
        .offset:         0
        .size:           8
        .value_kind:     global_buffer
      - .actual_access:  read_only
        .address_space:  global
        .offset:         8
        .size:           8
        .value_kind:     global_buffer
      - .actual_access:  read_only
        .address_space:  global
        .offset:         16
        .size:           8
        .value_kind:     global_buffer
      - .actual_access:  read_only
        .address_space:  global
        .offset:         24
        .size:           8
        .value_kind:     global_buffer
      - .actual_access:  read_only
        .address_space:  global
        .offset:         32
        .size:           8
        .value_kind:     global_buffer
      - .offset:         40
        .size:           4
        .value_kind:     by_value
      - .offset:         44
        .size:           4
        .value_kind:     by_value
      - .offset:         48
        .size:           4
        .value_kind:     by_value
      - .offset:         52
        .size:           4
        .value_kind:     by_value
      - .offset:         56
        .size:           4
        .value_kind:     by_value
    .group_segment_fixed_size: 0
    .kernarg_segment_align: 8
    .kernarg_segment_size: 60
    .language:       OpenCL C
    .language_version:
      - 2
      - 0
    .max_flat_workgroup_size: 1024
    .name:           _ZN5aiter55rope_hadamard_rotate_activation_fp4quant_inplace_kernelItLi128ELb1ELi16EEEvPT_PKS1_S4_S4_PKliiiii
    .private_segment_fixed_size: 0
    .sgpr_count:     12
    .sgpr_spill_count: 0
    .symbol:         _ZN5aiter55rope_hadamard_rotate_activation_fp4quant_inplace_kernelItLi128ELb1ELi16EEEvPT_PKS1_S4_S4_PKliiiii.kd
    .uniform_work_group_size: 1
    .uses_dynamic_stack: false
    .vgpr_count:     5
    .vgpr_spill_count: 0
    .wavefront_size: 64
  - .agpr_count:     0
    .args:
      - .actual_access:  write_only
        .address_space:  global
        .offset:         0
        .size:           8
        .value_kind:     global_buffer
      - .actual_access:  read_only
        .address_space:  global
        .offset:         8
        .size:           8
        .value_kind:     global_buffer
      - .actual_access:  read_only
        .address_space:  global
        .offset:         16
        .size:           8
        .value_kind:     global_buffer
      - .actual_access:  read_only
        .address_space:  global
        .offset:         24
        .size:           8
        .value_kind:     global_buffer
      - .actual_access:  read_only
        .address_space:  global
        .offset:         32
        .size:           8
        .value_kind:     global_buffer
      - .offset:         40
        .size:           4
        .value_kind:     by_value
      - .offset:         44
        .size:           4
        .value_kind:     by_value
      - .offset:         48
        .size:           4
        .value_kind:     by_value
      - .offset:         52
        .size:           4
        .value_kind:     by_value
      - .offset:         56
        .size:           4
        .value_kind:     by_value
    .group_segment_fixed_size: 0
    .kernarg_segment_align: 8
    .kernarg_segment_size: 60
    .language:       OpenCL C
    .language_version:
      - 2
      - 0
    .max_flat_workgroup_size: 1024
    .name:           _ZN5aiter55rope_hadamard_rotate_activation_fp4quant_inplace_kernelIDF16_Li256ELb1ELi16EEEvPT_PKS1_S4_S4_PKliiiii
    .private_segment_fixed_size: 0
    .sgpr_count:     12
    .sgpr_spill_count: 0
    .symbol:         _ZN5aiter55rope_hadamard_rotate_activation_fp4quant_inplace_kernelIDF16_Li256ELb1ELi16EEEvPT_PKS1_S4_S4_PKliiiii.kd
    .uniform_work_group_size: 1
    .uses_dynamic_stack: false
    .vgpr_count:     5
    .vgpr_spill_count: 0
    .wavefront_size: 64
  - .agpr_count:     0
    .args:
      - .actual_access:  write_only
        .address_space:  global
        .offset:         0
        .size:           8
        .value_kind:     global_buffer
      - .actual_access:  read_only
        .address_space:  global
        .offset:         8
        .size:           8
        .value_kind:     global_buffer
      - .actual_access:  read_only
        .address_space:  global
        .offset:         16
        .size:           8
        .value_kind:     global_buffer
      - .actual_access:  read_only
        .address_space:  global
        .offset:         24
        .size:           8
        .value_kind:     global_buffer
      - .actual_access:  read_only
        .address_space:  global
        .offset:         32
        .size:           8
        .value_kind:     global_buffer
      - .offset:         40
        .size:           4
        .value_kind:     by_value
      - .offset:         44
        .size:           4
        .value_kind:     by_value
      - .offset:         48
        .size:           4
        .value_kind:     by_value
      - .offset:         52
        .size:           4
        .value_kind:     by_value
      - .offset:         56
        .size:           4
        .value_kind:     by_value
    .group_segment_fixed_size: 0
    .kernarg_segment_align: 8
    .kernarg_segment_size: 60
    .language:       OpenCL C
    .language_version:
      - 2
      - 0
    .max_flat_workgroup_size: 1024
    .name:           _ZN5aiter55rope_hadamard_rotate_activation_fp4quant_inplace_kernelItLi256ELb1ELi16EEEvPT_PKS1_S4_S4_PKliiiii
    .private_segment_fixed_size: 0
    .sgpr_count:     12
    .sgpr_spill_count: 0
    .symbol:         _ZN5aiter55rope_hadamard_rotate_activation_fp4quant_inplace_kernelItLi256ELb1ELi16EEEvPT_PKS1_S4_S4_PKliiiii.kd
    .uniform_work_group_size: 1
    .uses_dynamic_stack: false
    .vgpr_count:     5
    .vgpr_spill_count: 0
    .wavefront_size: 64
  - .agpr_count:     0
    .args:
      - .actual_access:  write_only
        .address_space:  global
        .offset:         0
        .size:           8
        .value_kind:     global_buffer
      - .actual_access:  read_only
        .address_space:  global
        .offset:         8
        .size:           8
        .value_kind:     global_buffer
      - .actual_access:  read_only
        .address_space:  global
        .offset:         16
        .size:           8
        .value_kind:     global_buffer
      - .actual_access:  read_only
        .address_space:  global
        .offset:         24
        .size:           8
        .value_kind:     global_buffer
      - .actual_access:  read_only
        .address_space:  global
        .offset:         32
        .size:           8
        .value_kind:     global_buffer
      - .offset:         40
        .size:           4
        .value_kind:     by_value
      - .offset:         44
        .size:           4
        .value_kind:     by_value
      - .offset:         48
        .size:           4
        .value_kind:     by_value
      - .offset:         52
        .size:           4
        .value_kind:     by_value
      - .offset:         56
        .size:           4
        .value_kind:     by_value
    .group_segment_fixed_size: 0
    .kernarg_segment_align: 8
    .kernarg_segment_size: 60
    .language:       OpenCL C
    .language_version:
      - 2
      - 0
    .max_flat_workgroup_size: 1024
    .name:           _ZN5aiter55rope_hadamard_rotate_activation_fp4quant_inplace_kernelIDF16_Li512ELb1ELi16EEEvPT_PKS1_S4_S4_PKliiiii
    .private_segment_fixed_size: 0
    .sgpr_count:     12
    .sgpr_spill_count: 0
    .symbol:         _ZN5aiter55rope_hadamard_rotate_activation_fp4quant_inplace_kernelIDF16_Li512ELb1ELi16EEEvPT_PKS1_S4_S4_PKliiiii.kd
    .uniform_work_group_size: 1
    .uses_dynamic_stack: false
    .vgpr_count:     5
    .vgpr_spill_count: 0
    .wavefront_size: 64
  - .agpr_count:     0
    .args:
      - .actual_access:  write_only
        .address_space:  global
        .offset:         0
        .size:           8
        .value_kind:     global_buffer
      - .actual_access:  read_only
        .address_space:  global
        .offset:         8
        .size:           8
        .value_kind:     global_buffer
      - .actual_access:  read_only
        .address_space:  global
        .offset:         16
        .size:           8
        .value_kind:     global_buffer
      - .actual_access:  read_only
        .address_space:  global
        .offset:         24
        .size:           8
        .value_kind:     global_buffer
      - .actual_access:  read_only
        .address_space:  global
        .offset:         32
        .size:           8
        .value_kind:     global_buffer
      - .offset:         40
        .size:           4
        .value_kind:     by_value
      - .offset:         44
        .size:           4
        .value_kind:     by_value
      - .offset:         48
        .size:           4
        .value_kind:     by_value
      - .offset:         52
        .size:           4
        .value_kind:     by_value
      - .offset:         56
        .size:           4
        .value_kind:     by_value
    .group_segment_fixed_size: 0
    .kernarg_segment_align: 8
    .kernarg_segment_size: 60
    .language:       OpenCL C
    .language_version:
      - 2
      - 0
    .max_flat_workgroup_size: 1024
    .name:           _ZN5aiter55rope_hadamard_rotate_activation_fp4quant_inplace_kernelItLi512ELb1ELi16EEEvPT_PKS1_S4_S4_PKliiiii
    .private_segment_fixed_size: 0
    .sgpr_count:     12
    .sgpr_spill_count: 0
    .symbol:         _ZN5aiter55rope_hadamard_rotate_activation_fp4quant_inplace_kernelItLi512ELb1ELi16EEEvPT_PKS1_S4_S4_PKliiiii.kd
    .uniform_work_group_size: 1
    .uses_dynamic_stack: false
    .vgpr_count:     5
    .vgpr_spill_count: 0
    .wavefront_size: 64
  - .agpr_count:     0
    .args:
      - .actual_access:  write_only
        .address_space:  global
        .offset:         0
        .size:           8
        .value_kind:     global_buffer
      - .actual_access:  read_only
        .address_space:  global
        .offset:         8
        .size:           8
        .value_kind:     global_buffer
      - .actual_access:  read_only
        .address_space:  global
        .offset:         16
        .size:           8
        .value_kind:     global_buffer
      - .actual_access:  read_only
        .address_space:  global
        .offset:         24
        .size:           8
        .value_kind:     global_buffer
      - .actual_access:  read_only
        .address_space:  global
        .offset:         32
        .size:           8
        .value_kind:     global_buffer
      - .offset:         40
        .size:           4
        .value_kind:     by_value
      - .offset:         44
        .size:           4
        .value_kind:     by_value
      - .offset:         48
        .size:           4
        .value_kind:     by_value
      - .offset:         52
        .size:           4
        .value_kind:     by_value
      - .offset:         56
        .size:           4
        .value_kind:     by_value
    .group_segment_fixed_size: 0
    .kernarg_segment_align: 8
    .kernarg_segment_size: 60
    .language:       OpenCL C
    .language_version:
      - 2
      - 0
    .max_flat_workgroup_size: 1024
    .name:           _ZN5aiter55rope_hadamard_rotate_activation_fp4quant_inplace_kernelIDF16_Li1024ELb1ELi32EEEvPT_PKS1_S4_S4_PKliiiii
    .private_segment_fixed_size: 0
    .sgpr_count:     12
    .sgpr_spill_count: 0
    .symbol:         _ZN5aiter55rope_hadamard_rotate_activation_fp4quant_inplace_kernelIDF16_Li1024ELb1ELi32EEEvPT_PKS1_S4_S4_PKliiiii.kd
    .uniform_work_group_size: 1
    .uses_dynamic_stack: false
    .vgpr_count:     5
    .vgpr_spill_count: 0
    .wavefront_size: 64
  - .agpr_count:     0
    .args:
      - .actual_access:  write_only
        .address_space:  global
        .offset:         0
        .size:           8
        .value_kind:     global_buffer
      - .actual_access:  read_only
        .address_space:  global
        .offset:         8
        .size:           8
        .value_kind:     global_buffer
      - .actual_access:  read_only
        .address_space:  global
        .offset:         16
        .size:           8
        .value_kind:     global_buffer
      - .actual_access:  read_only
        .address_space:  global
        .offset:         24
        .size:           8
        .value_kind:     global_buffer
      - .actual_access:  read_only
        .address_space:  global
        .offset:         32
        .size:           8
        .value_kind:     global_buffer
      - .offset:         40
        .size:           4
        .value_kind:     by_value
      - .offset:         44
        .size:           4
        .value_kind:     by_value
      - .offset:         48
        .size:           4
        .value_kind:     by_value
      - .offset:         52
        .size:           4
        .value_kind:     by_value
      - .offset:         56
        .size:           4
        .value_kind:     by_value
    .group_segment_fixed_size: 0
    .kernarg_segment_align: 8
    .kernarg_segment_size: 60
    .language:       OpenCL C
    .language_version:
      - 2
      - 0
    .max_flat_workgroup_size: 1024
    .name:           _ZN5aiter55rope_hadamard_rotate_activation_fp4quant_inplace_kernelItLi1024ELb1ELi32EEEvPT_PKS1_S4_S4_PKliiiii
    .private_segment_fixed_size: 0
    .sgpr_count:     12
    .sgpr_spill_count: 0
    .symbol:         _ZN5aiter55rope_hadamard_rotate_activation_fp4quant_inplace_kernelItLi1024ELb1ELi32EEEvPT_PKS1_S4_S4_PKliiiii.kd
    .uniform_work_group_size: 1
    .uses_dynamic_stack: false
    .vgpr_count:     5
    .vgpr_spill_count: 0
    .wavefront_size: 64
  - .agpr_count:     0
    .args:
      - .actual_access:  write_only
        .address_space:  global
        .offset:         0
        .size:           8
        .value_kind:     global_buffer
      - .actual_access:  read_only
        .address_space:  global
        .offset:         8
        .size:           8
        .value_kind:     global_buffer
      - .actual_access:  read_only
        .address_space:  global
        .offset:         16
        .size:           8
        .value_kind:     global_buffer
      - .actual_access:  read_only
        .address_space:  global
        .offset:         24
        .size:           8
        .value_kind:     global_buffer
      - .actual_access:  read_only
        .address_space:  global
        .offset:         32
        .size:           8
        .value_kind:     global_buffer
      - .offset:         40
        .size:           4
        .value_kind:     by_value
      - .offset:         44
        .size:           4
        .value_kind:     by_value
      - .offset:         48
        .size:           4
        .value_kind:     by_value
      - .offset:         52
        .size:           4
        .value_kind:     by_value
      - .offset:         56
        .size:           4
        .value_kind:     by_value
    .group_segment_fixed_size: 0
    .kernarg_segment_align: 8
    .kernarg_segment_size: 60
    .language:       OpenCL C
    .language_version:
      - 2
      - 0
    .max_flat_workgroup_size: 1024
    .name:           _ZN5aiter55rope_hadamard_rotate_activation_fp4quant_inplace_kernelIDF16_Li128ELb0ELi16EEEvPT_PKS1_S4_S4_PKliiiii
    .private_segment_fixed_size: 0
    .sgpr_count:     24
    .sgpr_spill_count: 0
    .symbol:         _ZN5aiter55rope_hadamard_rotate_activation_fp4quant_inplace_kernelIDF16_Li128ELb0ELi16EEEvPT_PKS1_S4_S4_PKliiiii.kd
    .uniform_work_group_size: 1
    .uses_dynamic_stack: false
    .vgpr_count:     54
    .vgpr_spill_count: 0
    .wavefront_size: 64
  - .agpr_count:     0
    .args:
      - .actual_access:  write_only
        .address_space:  global
        .offset:         0
        .size:           8
        .value_kind:     global_buffer
      - .actual_access:  read_only
        .address_space:  global
        .offset:         8
        .size:           8
        .value_kind:     global_buffer
      - .actual_access:  read_only
        .address_space:  global
        .offset:         16
        .size:           8
        .value_kind:     global_buffer
      - .actual_access:  read_only
        .address_space:  global
        .offset:         24
        .size:           8
        .value_kind:     global_buffer
      - .actual_access:  read_only
        .address_space:  global
        .offset:         32
        .size:           8
        .value_kind:     global_buffer
      - .offset:         40
        .size:           4
        .value_kind:     by_value
      - .offset:         44
        .size:           4
        .value_kind:     by_value
      - .offset:         48
        .size:           4
        .value_kind:     by_value
      - .offset:         52
        .size:           4
        .value_kind:     by_value
      - .offset:         56
        .size:           4
        .value_kind:     by_value
    .group_segment_fixed_size: 0
    .kernarg_segment_align: 8
    .kernarg_segment_size: 60
    .language:       OpenCL C
    .language_version:
      - 2
      - 0
    .max_flat_workgroup_size: 1024
    .name:           _ZN5aiter55rope_hadamard_rotate_activation_fp4quant_inplace_kernelItLi128ELb0ELi16EEEvPT_PKS1_S4_S4_PKliiiii
    .private_segment_fixed_size: 0
    .sgpr_count:     24
    .sgpr_spill_count: 0
    .symbol:         _ZN5aiter55rope_hadamard_rotate_activation_fp4quant_inplace_kernelItLi128ELb0ELi16EEEvPT_PKS1_S4_S4_PKliiiii.kd
    .uniform_work_group_size: 1
    .uses_dynamic_stack: false
    .vgpr_count:     60
    .vgpr_spill_count: 0
    .wavefront_size: 64
  - .agpr_count:     0
    .args:
      - .actual_access:  write_only
        .address_space:  global
        .offset:         0
        .size:           8
        .value_kind:     global_buffer
      - .actual_access:  read_only
        .address_space:  global
        .offset:         8
        .size:           8
        .value_kind:     global_buffer
      - .actual_access:  read_only
        .address_space:  global
        .offset:         16
        .size:           8
        .value_kind:     global_buffer
      - .actual_access:  read_only
        .address_space:  global
        .offset:         24
        .size:           8
        .value_kind:     global_buffer
      - .actual_access:  read_only
        .address_space:  global
        .offset:         32
        .size:           8
        .value_kind:     global_buffer
      - .offset:         40
        .size:           4
        .value_kind:     by_value
      - .offset:         44
        .size:           4
        .value_kind:     by_value
      - .offset:         48
        .size:           4
        .value_kind:     by_value
      - .offset:         52
        .size:           4
        .value_kind:     by_value
      - .offset:         56
        .size:           4
        .value_kind:     by_value
    .group_segment_fixed_size: 0
    .kernarg_segment_align: 8
    .kernarg_segment_size: 60
    .language:       OpenCL C
    .language_version:
      - 2
      - 0
    .max_flat_workgroup_size: 1024
    .name:           _ZN5aiter55rope_hadamard_rotate_activation_fp4quant_inplace_kernelIDF16_Li256ELb0ELi16EEEvPT_PKS1_S4_S4_PKliiiii
    .private_segment_fixed_size: 0
    .sgpr_count:     24
    .sgpr_spill_count: 0
    .symbol:         _ZN5aiter55rope_hadamard_rotate_activation_fp4quant_inplace_kernelIDF16_Li256ELb0ELi16EEEvPT_PKS1_S4_S4_PKliiiii.kd
    .uniform_work_group_size: 1
    .uses_dynamic_stack: false
    .vgpr_count:     54
    .vgpr_spill_count: 0
    .wavefront_size: 64
  - .agpr_count:     0
    .args:
      - .actual_access:  write_only
        .address_space:  global
        .offset:         0
        .size:           8
        .value_kind:     global_buffer
      - .actual_access:  read_only
        .address_space:  global
        .offset:         8
        .size:           8
        .value_kind:     global_buffer
      - .actual_access:  read_only
        .address_space:  global
        .offset:         16
        .size:           8
        .value_kind:     global_buffer
      - .actual_access:  read_only
        .address_space:  global
        .offset:         24
        .size:           8
        .value_kind:     global_buffer
      - .actual_access:  read_only
        .address_space:  global
        .offset:         32
        .size:           8
        .value_kind:     global_buffer
      - .offset:         40
        .size:           4
        .value_kind:     by_value
      - .offset:         44
        .size:           4
        .value_kind:     by_value
      - .offset:         48
        .size:           4
        .value_kind:     by_value
      - .offset:         52
        .size:           4
        .value_kind:     by_value
      - .offset:         56
        .size:           4
        .value_kind:     by_value
    .group_segment_fixed_size: 0
    .kernarg_segment_align: 8
    .kernarg_segment_size: 60
    .language:       OpenCL C
    .language_version:
      - 2
      - 0
    .max_flat_workgroup_size: 1024
    .name:           _ZN5aiter55rope_hadamard_rotate_activation_fp4quant_inplace_kernelItLi256ELb0ELi16EEEvPT_PKS1_S4_S4_PKliiiii
    .private_segment_fixed_size: 0
    .sgpr_count:     24
    .sgpr_spill_count: 0
    .symbol:         _ZN5aiter55rope_hadamard_rotate_activation_fp4quant_inplace_kernelItLi256ELb0ELi16EEEvPT_PKS1_S4_S4_PKliiiii.kd
    .uniform_work_group_size: 1
    .uses_dynamic_stack: false
    .vgpr_count:     60
    .vgpr_spill_count: 0
    .wavefront_size: 64
  - .agpr_count:     0
    .args:
      - .actual_access:  write_only
        .address_space:  global
        .offset:         0
        .size:           8
        .value_kind:     global_buffer
      - .actual_access:  read_only
        .address_space:  global
        .offset:         8
        .size:           8
        .value_kind:     global_buffer
      - .actual_access:  read_only
        .address_space:  global
        .offset:         16
        .size:           8
        .value_kind:     global_buffer
      - .actual_access:  read_only
        .address_space:  global
        .offset:         24
        .size:           8
        .value_kind:     global_buffer
      - .actual_access:  read_only
        .address_space:  global
        .offset:         32
        .size:           8
        .value_kind:     global_buffer
      - .offset:         40
        .size:           4
        .value_kind:     by_value
      - .offset:         44
        .size:           4
        .value_kind:     by_value
      - .offset:         48
        .size:           4
        .value_kind:     by_value
      - .offset:         52
        .size:           4
        .value_kind:     by_value
      - .offset:         56
        .size:           4
        .value_kind:     by_value
    .group_segment_fixed_size: 0
    .kernarg_segment_align: 8
    .kernarg_segment_size: 60
    .language:       OpenCL C
    .language_version:
      - 2
      - 0
    .max_flat_workgroup_size: 1024
    .name:           _ZN5aiter55rope_hadamard_rotate_activation_fp4quant_inplace_kernelIDF16_Li512ELb0ELi16EEEvPT_PKS1_S4_S4_PKliiiii
    .private_segment_fixed_size: 0
    .sgpr_count:     24
    .sgpr_spill_count: 0
    .symbol:         _ZN5aiter55rope_hadamard_rotate_activation_fp4quant_inplace_kernelIDF16_Li512ELb0ELi16EEEvPT_PKS1_S4_S4_PKliiiii.kd
    .uniform_work_group_size: 1
    .uses_dynamic_stack: false
    .vgpr_count:     54
    .vgpr_spill_count: 0
    .wavefront_size: 64
  - .agpr_count:     0
    .args:
      - .actual_access:  write_only
        .address_space:  global
        .offset:         0
        .size:           8
        .value_kind:     global_buffer
      - .actual_access:  read_only
        .address_space:  global
        .offset:         8
        .size:           8
        .value_kind:     global_buffer
      - .actual_access:  read_only
        .address_space:  global
        .offset:         16
        .size:           8
        .value_kind:     global_buffer
      - .actual_access:  read_only
        .address_space:  global
        .offset:         24
        .size:           8
        .value_kind:     global_buffer
      - .actual_access:  read_only
        .address_space:  global
        .offset:         32
        .size:           8
        .value_kind:     global_buffer
      - .offset:         40
        .size:           4
        .value_kind:     by_value
      - .offset:         44
        .size:           4
        .value_kind:     by_value
      - .offset:         48
        .size:           4
        .value_kind:     by_value
      - .offset:         52
        .size:           4
        .value_kind:     by_value
      - .offset:         56
        .size:           4
        .value_kind:     by_value
    .group_segment_fixed_size: 0
    .kernarg_segment_align: 8
    .kernarg_segment_size: 60
    .language:       OpenCL C
    .language_version:
      - 2
      - 0
    .max_flat_workgroup_size: 1024
    .name:           _ZN5aiter55rope_hadamard_rotate_activation_fp4quant_inplace_kernelItLi512ELb0ELi16EEEvPT_PKS1_S4_S4_PKliiiii
    .private_segment_fixed_size: 0
    .sgpr_count:     24
    .sgpr_spill_count: 0
    .symbol:         _ZN5aiter55rope_hadamard_rotate_activation_fp4quant_inplace_kernelItLi512ELb0ELi16EEEvPT_PKS1_S4_S4_PKliiiii.kd
    .uniform_work_group_size: 1
    .uses_dynamic_stack: false
    .vgpr_count:     60
    .vgpr_spill_count: 0
    .wavefront_size: 64
  - .agpr_count:     0
    .args:
      - .actual_access:  write_only
        .address_space:  global
        .offset:         0
        .size:           8
        .value_kind:     global_buffer
      - .actual_access:  read_only
        .address_space:  global
        .offset:         8
        .size:           8
        .value_kind:     global_buffer
      - .actual_access:  read_only
        .address_space:  global
        .offset:         16
        .size:           8
        .value_kind:     global_buffer
      - .actual_access:  read_only
        .address_space:  global
        .offset:         24
        .size:           8
        .value_kind:     global_buffer
      - .actual_access:  read_only
        .address_space:  global
        .offset:         32
        .size:           8
        .value_kind:     global_buffer
      - .offset:         40
        .size:           4
        .value_kind:     by_value
      - .offset:         44
        .size:           4
        .value_kind:     by_value
      - .offset:         48
        .size:           4
        .value_kind:     by_value
      - .offset:         52
        .size:           4
        .value_kind:     by_value
      - .offset:         56
        .size:           4
        .value_kind:     by_value
    .group_segment_fixed_size: 0
    .kernarg_segment_align: 8
    .kernarg_segment_size: 60
    .language:       OpenCL C
    .language_version:
      - 2
      - 0
    .max_flat_workgroup_size: 1024
    .name:           _ZN5aiter55rope_hadamard_rotate_activation_fp4quant_inplace_kernelIDF16_Li1024ELb0ELi32EEEvPT_PKS1_S4_S4_PKliiiii
    .private_segment_fixed_size: 0
    .sgpr_count:     24
    .sgpr_spill_count: 0
    .symbol:         _ZN5aiter55rope_hadamard_rotate_activation_fp4quant_inplace_kernelIDF16_Li1024ELb0ELi32EEEvPT_PKS1_S4_S4_PKliiiii.kd
    .uniform_work_group_size: 1
    .uses_dynamic_stack: false
    .vgpr_count:     98
    .vgpr_spill_count: 0
    .wavefront_size: 64
  - .agpr_count:     0
    .args:
      - .actual_access:  write_only
        .address_space:  global
        .offset:         0
        .size:           8
        .value_kind:     global_buffer
      - .actual_access:  read_only
        .address_space:  global
        .offset:         8
        .size:           8
        .value_kind:     global_buffer
      - .actual_access:  read_only
        .address_space:  global
        .offset:         16
        .size:           8
        .value_kind:     global_buffer
      - .actual_access:  read_only
        .address_space:  global
        .offset:         24
        .size:           8
        .value_kind:     global_buffer
      - .actual_access:  read_only
        .address_space:  global
        .offset:         32
        .size:           8
        .value_kind:     global_buffer
      - .offset:         40
        .size:           4
        .value_kind:     by_value
      - .offset:         44
        .size:           4
        .value_kind:     by_value
      - .offset:         48
        .size:           4
        .value_kind:     by_value
      - .offset:         52
        .size:           4
        .value_kind:     by_value
      - .offset:         56
        .size:           4
        .value_kind:     by_value
    .group_segment_fixed_size: 0
    .kernarg_segment_align: 8
    .kernarg_segment_size: 60
    .language:       OpenCL C
    .language_version:
      - 2
      - 0
    .max_flat_workgroup_size: 1024
    .name:           _ZN5aiter55rope_hadamard_rotate_activation_fp4quant_inplace_kernelItLi1024ELb0ELi32EEEvPT_PKS1_S4_S4_PKliiiii
    .private_segment_fixed_size: 0
    .sgpr_count:     24
    .sgpr_spill_count: 0
    .symbol:         _ZN5aiter55rope_hadamard_rotate_activation_fp4quant_inplace_kernelItLi1024ELb0ELi32EEEvPT_PKS1_S4_S4_PKliiiii.kd
    .uniform_work_group_size: 1
    .uses_dynamic_stack: false
    .vgpr_count:     98
    .vgpr_spill_count: 0
    .wavefront_size: 64
amdhsa.target:   amdgcn-amd-amdhsa--gfx90a
amdhsa.version:
  - 1
  - 2
...

	.end_amdgpu_metadata
